;; amdgpu-corpus repo=ROCm/rocFFT kind=compiled arch=gfx906 opt=O3
	.text
	.amdgcn_target "amdgcn-amd-amdhsa--gfx906"
	.amdhsa_code_object_version 6
	.protected	bluestein_single_fwd_len450_dim1_half_op_CI_CI ; -- Begin function bluestein_single_fwd_len450_dim1_half_op_CI_CI
	.globl	bluestein_single_fwd_len450_dim1_half_op_CI_CI
	.p2align	8
	.type	bluestein_single_fwd_len450_dim1_half_op_CI_CI,@function
bluestein_single_fwd_len450_dim1_half_op_CI_CI: ; @bluestein_single_fwd_len450_dim1_half_op_CI_CI
; %bb.0:
	s_load_dwordx4 s[8:11], s[4:5], 0x28
	v_mul_u32_u24_e32 v1, 0x889, v0
	v_lshrrev_b32_e32 v2, 16, v1
	v_lshl_add_u32 v14, s6, 2, v2
	v_mov_b32_e32 v15, 0
	s_waitcnt lgkmcnt(0)
	v_cmp_gt_u64_e32 vcc, s[8:9], v[14:15]
	s_and_saveexec_b64 s[0:1], vcc
	s_cbranch_execz .LBB0_15
; %bb.1:
	s_load_dwordx4 s[0:3], s[4:5], 0x18
	v_mul_lo_u16_e32 v1, 30, v2
	v_sub_u16_e32 v65, v0, v1
	s_load_dwordx2 s[6:7], s[4:5], 0x38
	s_waitcnt lgkmcnt(0)
	s_load_dwordx4 s[12:15], s[0:1], 0x0
	s_waitcnt lgkmcnt(0)
	v_mad_u64_u32 v[0:1], s[0:1], s14, v14, 0
	v_mad_u64_u32 v[3:4], s[0:1], s12, v65, 0
	;; [unrolled: 1-line block ×3, first 2 shown]
	s_load_dwordx2 s[14:15], s[4:5], 0x0
	v_and_b32_e32 v2, 3, v2
	v_mad_u64_u32 v[6:7], s[0:1], s13, v65, v[4:5]
	v_mov_b32_e32 v1, v5
	v_lshlrev_b64 v[0:1], 2, v[0:1]
	v_mov_b32_e32 v7, s11
	v_mov_b32_e32 v4, v6
	v_add_co_u32_e32 v5, vcc, s10, v0
	v_addc_co_u32_e32 v6, vcc, v7, v1, vcc
	v_lshlrev_b64 v[0:1], 2, v[3:4]
	s_mul_i32 s0, s13, 45
	v_add_co_u32_e32 v0, vcc, v5, v0
	v_addc_co_u32_e32 v1, vcc, v6, v1, vcc
	s_mul_hi_u32 s1, s12, 45
	global_load_dword v3, v[0:1], off
	v_lshlrev_b32_e32 v4, 2, v65
	s_add_i32 s1, s1, s0
	s_mul_i32 s0, s12, 45
	s_waitcnt lgkmcnt(0)
	global_load_dword v66, v4, s[14:15]
	s_lshl_b64 s[16:17], s[0:1], 2
	v_mov_b32_e32 v5, s17
	v_add_co_u32_e32 v0, vcc, s16, v0
	v_addc_co_u32_e32 v1, vcc, v1, v5, vcc
	global_load_dword v6, v[0:1], off
	global_load_dword v64, v4, s[14:15] offset:180
	v_add_co_u32_e32 v0, vcc, s16, v0
	v_addc_co_u32_e32 v1, vcc, v1, v5, vcc
	global_load_dword v7, v[0:1], off
	global_load_dword v63, v4, s[14:15] offset:360
	;; [unrolled: 4-line block ×9, first 2 shown]
	v_mul_u32_u24_e32 v2, 0x1c2, v2
	v_lshlrev_b32_e32 v67, 2, v2
	v_mov_b32_e32 v2, s15
	v_add_co_u32_e32 v12, vcc, s14, v4
	v_addc_co_u32_e32 v13, vcc, 0, v2, vcc
	v_add_u32_e32 v55, v67, v4
	s_load_dwordx4 s[8:11], s[2:3], 0x0
	v_cmp_gt_u16_e64 s[0:1], 15, v65
	s_waitcnt vmcnt(19)
	v_lshrrev_b32_e32 v2, 16, v3
	s_waitcnt vmcnt(18)
	v_mul_f16_sdwa v4, v66, v3 dst_sel:DWORD dst_unused:UNUSED_PAD src0_sel:WORD_1 src1_sel:DWORD
	v_mul_f16_sdwa v17, v66, v2 dst_sel:DWORD dst_unused:UNUSED_PAD src0_sel:WORD_1 src1_sel:DWORD
	v_fma_f16 v2, v66, v2, -v4
	v_fma_f16 v3, v66, v3, v17
	v_pack_b32_f16 v2, v3, v2
	s_waitcnt vmcnt(17)
	v_lshrrev_b32_e32 v3, 16, v6
	s_waitcnt vmcnt(16)
	v_mul_f16_sdwa v4, v64, v3 dst_sel:DWORD dst_unused:UNUSED_PAD src0_sel:WORD_1 src1_sel:DWORD
	v_fma_f16 v4, v64, v6, v4
	v_mul_f16_sdwa v6, v64, v6 dst_sel:DWORD dst_unused:UNUSED_PAD src0_sel:WORD_1 src1_sel:DWORD
	v_fma_f16 v3, v64, v3, -v6
	v_pack_b32_f16 v3, v4, v3
	ds_write2_b32 v55, v2, v3 offset1:45
	s_waitcnt vmcnt(15)
	v_lshrrev_b32_e32 v2, 16, v7
	s_waitcnt vmcnt(14)
	v_mul_f16_sdwa v3, v63, v2 dst_sel:DWORD dst_unused:UNUSED_PAD src0_sel:WORD_1 src1_sel:DWORD
	v_mul_f16_sdwa v4, v63, v7 dst_sel:DWORD dst_unused:UNUSED_PAD src0_sel:WORD_1 src1_sel:DWORD
	v_fma_f16 v3, v63, v7, v3
	v_fma_f16 v2, v63, v2, -v4
	v_pack_b32_f16 v2, v3, v2
	s_waitcnt vmcnt(13)
	v_lshrrev_b32_e32 v3, 16, v8
	s_waitcnt vmcnt(12)
	v_mul_f16_sdwa v4, v62, v3 dst_sel:DWORD dst_unused:UNUSED_PAD src0_sel:WORD_1 src1_sel:DWORD
	v_mul_f16_sdwa v6, v62, v8 dst_sel:DWORD dst_unused:UNUSED_PAD src0_sel:WORD_1 src1_sel:DWORD
	v_fma_f16 v4, v62, v8, v4
	v_fma_f16 v3, v62, v3, -v6
	v_pack_b32_f16 v3, v4, v3
	ds_write2_b32 v55, v2, v3 offset0:90 offset1:135
	s_waitcnt vmcnt(11)
	v_lshrrev_b32_e32 v2, 16, v9
	s_waitcnt vmcnt(10)
	v_mul_f16_sdwa v3, v61, v2 dst_sel:DWORD dst_unused:UNUSED_PAD src0_sel:WORD_1 src1_sel:DWORD
	v_mul_f16_sdwa v4, v61, v9 dst_sel:DWORD dst_unused:UNUSED_PAD src0_sel:WORD_1 src1_sel:DWORD
	v_fma_f16 v3, v61, v9, v3
	v_fma_f16 v2, v61, v2, -v4
	v_pack_b32_f16 v2, v3, v2
	s_waitcnt vmcnt(9)
	v_lshrrev_b32_e32 v3, 16, v10
	s_waitcnt vmcnt(8)
	v_mul_f16_sdwa v4, v60, v3 dst_sel:DWORD dst_unused:UNUSED_PAD src0_sel:WORD_1 src1_sel:DWORD
	v_mul_f16_sdwa v6, v60, v10 dst_sel:DWORD dst_unused:UNUSED_PAD src0_sel:WORD_1 src1_sel:DWORD
	v_fma_f16 v4, v60, v10, v4
	v_fma_f16 v3, v60, v3, -v6
	v_pack_b32_f16 v3, v4, v3
	ds_write2_b32 v55, v2, v3 offset0:180 offset1:225
	s_waitcnt vmcnt(7)
	v_lshrrev_b32_e32 v2, 16, v11
	s_waitcnt vmcnt(6)
	v_mul_f16_sdwa v3, v59, v2 dst_sel:DWORD dst_unused:UNUSED_PAD src0_sel:WORD_1 src1_sel:DWORD
	v_mul_f16_sdwa v4, v59, v11 dst_sel:DWORD dst_unused:UNUSED_PAD src0_sel:WORD_1 src1_sel:DWORD
	v_fma_f16 v3, v59, v11, v3
	v_fma_f16 v2, v59, v2, -v4
	v_pack_b32_f16 v2, v3, v2
	s_waitcnt vmcnt(5)
	v_lshrrev_b32_e32 v3, 16, v15
	s_waitcnt vmcnt(4)
	v_mul_f16_sdwa v4, v58, v3 dst_sel:DWORD dst_unused:UNUSED_PAD src0_sel:WORD_1 src1_sel:DWORD
	v_mul_f16_sdwa v6, v58, v15 dst_sel:DWORD dst_unused:UNUSED_PAD src0_sel:WORD_1 src1_sel:DWORD
	v_fma_f16 v4, v58, v15, v4
	v_fma_f16 v3, v58, v3, -v6
	v_pack_b32_f16 v3, v4, v3
	v_add_u32_e32 v6, 0x400, v55
	ds_write2_b32 v6, v2, v3 offset0:14 offset1:59
	s_waitcnt vmcnt(3)
	v_lshrrev_b32_e32 v2, 16, v16
	s_waitcnt vmcnt(2)
	v_mul_f16_sdwa v3, v57, v2 dst_sel:DWORD dst_unused:UNUSED_PAD src0_sel:WORD_1 src1_sel:DWORD
	v_mul_f16_sdwa v4, v57, v16 dst_sel:DWORD dst_unused:UNUSED_PAD src0_sel:WORD_1 src1_sel:DWORD
	v_fma_f16 v3, v57, v16, v3
	v_fma_f16 v2, v57, v2, -v4
	v_pack_b32_f16 v2, v3, v2
	s_waitcnt vmcnt(1)
	v_lshrrev_b32_e32 v3, 16, v5
	s_waitcnt vmcnt(0)
	v_mul_f16_sdwa v4, v56, v3 dst_sel:DWORD dst_unused:UNUSED_PAD src0_sel:WORD_1 src1_sel:DWORD
	v_fma_f16 v4, v56, v5, v4
	v_mul_f16_sdwa v5, v56, v5 dst_sel:DWORD dst_unused:UNUSED_PAD src0_sel:WORD_1 src1_sel:DWORD
	v_fma_f16 v3, v56, v3, -v5
	v_pack_b32_f16 v3, v4, v3
	ds_write2_b32 v6, v2, v3 offset0:104 offset1:149
	s_and_saveexec_b64 s[2:3], s[0:1]
	s_cbranch_execz .LBB0_3
; %bb.2:
	v_mov_b32_e32 v2, 0xfffffa24
	v_mad_u64_u32 v[0:1], s[18:19], s12, v2, v[0:1]
	s_mulk_i32 s13, 0xfa24
	s_sub_i32 s12, s13, s12
	v_add_u32_e32 v1, s12, v1
	global_load_dword v2, v[0:1], off
	global_load_dword v3, v[12:13], off offset:120
	v_mov_b32_e32 v4, s17
	v_add_co_u32_e32 v0, vcc, s16, v0
	v_addc_co_u32_e32 v1, vcc, v1, v4, vcc
	global_load_dword v5, v[0:1], off
	global_load_dword v7, v[12:13], off offset:300
	v_add_co_u32_e32 v0, vcc, s16, v0
	v_addc_co_u32_e32 v1, vcc, v1, v4, vcc
	global_load_dword v8, v[0:1], off
	global_load_dword v9, v[12:13], off offset:480
	;; [unrolled: 4-line block ×9, first 2 shown]
	s_waitcnt vmcnt(19)
	v_lshrrev_b32_e32 v0, 16, v2
	s_waitcnt vmcnt(18)
	v_mul_f16_sdwa v1, v3, v2 dst_sel:DWORD dst_unused:UNUSED_PAD src0_sel:WORD_1 src1_sel:DWORD
	v_mul_f16_sdwa v26, v3, v0 dst_sel:DWORD dst_unused:UNUSED_PAD src0_sel:WORD_1 src1_sel:DWORD
	v_fma_f16 v0, v3, v0, -v1
	v_fma_f16 v2, v3, v2, v26
	v_pack_b32_f16 v0, v2, v0
	s_waitcnt vmcnt(17)
	v_lshrrev_b32_e32 v1, 16, v5
	s_waitcnt vmcnt(16)
	v_mul_f16_sdwa v27, v7, v5 dst_sel:DWORD dst_unused:UNUSED_PAD src0_sel:WORD_1 src1_sel:DWORD
	v_mul_f16_sdwa v3, v7, v1 dst_sel:DWORD dst_unused:UNUSED_PAD src0_sel:WORD_1 src1_sel:DWORD
	v_fma_f16 v1, v7, v1, -v27
	v_fma_f16 v2, v7, v5, v3
	s_waitcnt vmcnt(15)
	v_lshrrev_b32_e32 v26, 16, v8
	s_waitcnt vmcnt(14)
	v_mul_f16_sdwa v27, v9, v8 dst_sel:DWORD dst_unused:UNUSED_PAD src0_sel:WORD_1 src1_sel:DWORD
	v_mul_f16_sdwa v3, v9, v26 dst_sel:DWORD dst_unused:UNUSED_PAD src0_sel:WORD_1 src1_sel:DWORD
	v_fma_f16 v5, v9, v26, -v27
	v_pack_b32_f16 v1, v2, v1
	s_waitcnt vmcnt(13)
	v_lshrrev_b32_e32 v7, 16, v10
	s_waitcnt vmcnt(12)
	v_mul_f16_sdwa v26, v11, v10 dst_sel:DWORD dst_unused:UNUSED_PAD src0_sel:WORD_1 src1_sel:DWORD
	v_fma_f16 v2, v9, v8, v3
	v_mul_f16_sdwa v3, v11, v7 dst_sel:DWORD dst_unused:UNUSED_PAD src0_sel:WORD_1 src1_sel:DWORD
	v_fma_f16 v7, v11, v7, -v26
	s_waitcnt vmcnt(11)
	v_lshrrev_b32_e32 v8, 16, v15
	ds_write2_b32 v55, v0, v1 offset0:30 offset1:75
	v_fma_f16 v1, v11, v10, v3
	s_waitcnt vmcnt(10)
	v_mul_f16_sdwa v9, v16, v15 dst_sel:DWORD dst_unused:UNUSED_PAD src0_sel:WORD_1 src1_sel:DWORD
	v_pack_b32_f16 v0, v2, v5
	v_mul_f16_sdwa v2, v16, v8 dst_sel:DWORD dst_unused:UNUSED_PAD src0_sel:WORD_1 src1_sel:DWORD
	v_pack_b32_f16 v1, v1, v7
	v_fma_f16 v3, v16, v8, -v9
	v_fma_f16 v2, v16, v15, v2
	ds_write2_b32 v55, v0, v1 offset0:120 offset1:165
	s_waitcnt vmcnt(9)
	v_lshrrev_b32_e32 v1, 16, v17
	v_pack_b32_f16 v0, v2, v3
	s_waitcnt vmcnt(8)
	v_mul_f16_sdwa v2, v18, v1 dst_sel:DWORD dst_unused:UNUSED_PAD src0_sel:WORD_1 src1_sel:DWORD
	v_mul_f16_sdwa v3, v18, v17 dst_sel:DWORD dst_unused:UNUSED_PAD src0_sel:WORD_1 src1_sel:DWORD
	v_fma_f16 v2, v18, v17, v2
	v_fma_f16 v1, v18, v1, -v3
	v_pack_b32_f16 v1, v2, v1
	ds_write2_b32 v55, v0, v1 offset0:210 offset1:255
	s_waitcnt vmcnt(7)
	v_lshrrev_b32_e32 v0, 16, v19
	s_waitcnt vmcnt(6)
	v_mul_f16_sdwa v1, v20, v0 dst_sel:DWORD dst_unused:UNUSED_PAD src0_sel:WORD_1 src1_sel:DWORD
	v_mul_f16_sdwa v2, v20, v19 dst_sel:DWORD dst_unused:UNUSED_PAD src0_sel:WORD_1 src1_sel:DWORD
	v_fma_f16 v1, v20, v19, v1
	v_fma_f16 v0, v20, v0, -v2
	v_pack_b32_f16 v0, v1, v0
	s_waitcnt vmcnt(5)
	v_lshrrev_b32_e32 v1, 16, v21
	s_waitcnt vmcnt(4)
	v_mul_f16_sdwa v2, v22, v1 dst_sel:DWORD dst_unused:UNUSED_PAD src0_sel:WORD_1 src1_sel:DWORD
	v_mul_f16_sdwa v3, v22, v21 dst_sel:DWORD dst_unused:UNUSED_PAD src0_sel:WORD_1 src1_sel:DWORD
	v_fma_f16 v2, v22, v21, v2
	v_fma_f16 v1, v22, v1, -v3
	v_pack_b32_f16 v1, v2, v1
	ds_write2_b32 v6, v0, v1 offset0:44 offset1:89
	s_waitcnt vmcnt(3)
	v_lshrrev_b32_e32 v0, 16, v23
	s_waitcnt vmcnt(2)
	v_mul_f16_sdwa v1, v24, v0 dst_sel:DWORD dst_unused:UNUSED_PAD src0_sel:WORD_1 src1_sel:DWORD
	v_mul_f16_sdwa v2, v24, v23 dst_sel:DWORD dst_unused:UNUSED_PAD src0_sel:WORD_1 src1_sel:DWORD
	v_fma_f16 v1, v24, v23, v1
	v_fma_f16 v0, v24, v0, -v2
	v_pack_b32_f16 v0, v1, v0
	s_waitcnt vmcnt(1)
	v_lshrrev_b32_e32 v1, 16, v4
	s_waitcnt vmcnt(0)
	v_mul_f16_sdwa v2, v25, v1 dst_sel:DWORD dst_unused:UNUSED_PAD src0_sel:WORD_1 src1_sel:DWORD
	v_mul_f16_sdwa v3, v25, v4 dst_sel:DWORD dst_unused:UNUSED_PAD src0_sel:WORD_1 src1_sel:DWORD
	v_fma_f16 v2, v25, v4, v2
	v_fma_f16 v1, v25, v1, -v3
	v_pack_b32_f16 v1, v2, v1
	ds_write2_b32 v6, v0, v1 offset0:134 offset1:179
.LBB0_3:
	s_or_b64 exec, exec, s[2:3]
	s_waitcnt lgkmcnt(0)
	s_barrier
	ds_read2_b32 v[10:11], v55 offset1:45
	ds_read2_b32 v[8:9], v55 offset0:90 offset1:135
	ds_read2_b32 v[4:5], v55 offset0:180 offset1:225
	;; [unrolled: 1-line block ×4, first 2 shown]
	s_load_dwordx2 s[2:3], s[4:5], 0x8
                                        ; implicit-def: $vgpr6
                                        ; implicit-def: $vgpr17
                                        ; implicit-def: $vgpr21
                                        ; implicit-def: $vgpr15
                                        ; implicit-def: $vgpr19
	s_and_saveexec_b64 s[4:5], s[0:1]
	s_cbranch_execz .LBB0_5
; %bb.4:
	ds_read2_b32 v[6:7], v55 offset0:30 offset1:75
	ds_read2_b32 v[17:18], v55 offset0:120 offset1:165
	;; [unrolled: 1-line block ×3, first 2 shown]
	v_add_u32_e32 v19, 0x400, v55
	ds_read2_b32 v[15:16], v19 offset0:44 offset1:89
	ds_read2_b32 v[19:20], v19 offset0:134 offset1:179
.LBB0_5:
	s_or_b64 exec, exec, s[4:5]
	s_waitcnt lgkmcnt(0)
	v_pk_add_f16 v23, v6, v17
	v_pk_add_f16 v35, v7, v18
	v_add_f16_e32 v24, v21, v15
	v_sub_f16_sdwa v25, v17, v19 dst_sel:DWORD dst_unused:UNUSED_PAD src0_sel:WORD_1 src1_sel:WORD_1
	v_sub_f16_sdwa v26, v21, v15 dst_sel:DWORD dst_unused:UNUSED_PAD src0_sel:WORD_1 src1_sel:WORD_1
	v_sub_f16_e32 v27, v17, v21
	v_add_f16_e32 v28, v17, v19
	v_sub_f16_e32 v29, v21, v17
	v_add_f16_sdwa v30, v21, v15 dst_sel:DWORD dst_unused:UNUSED_PAD src0_sel:WORD_1 src1_sel:WORD_1
	v_sub_f16_e32 v31, v17, v19
	v_sub_f16_e32 v32, v21, v15
	v_sub_f16_sdwa v33, v17, v21 dst_sel:DWORD dst_unused:UNUSED_PAD src0_sel:WORD_1 src1_sel:WORD_1
	v_add_f16_sdwa v34, v17, v19 dst_sel:DWORD dst_unused:UNUSED_PAD src0_sel:WORD_1 src1_sel:WORD_1
	v_sub_f16_sdwa v17, v21, v17 dst_sel:DWORD dst_unused:UNUSED_PAD src0_sel:WORD_1 src1_sel:WORD_1
	v_pk_add_f16 v21, v23, v21
	v_pk_add_f16 v23, v35, v22
	v_add_f16_e32 v36, v22, v16
	v_sub_f16_sdwa v38, v22, v16 dst_sel:DWORD dst_unused:UNUSED_PAD src0_sel:WORD_1 src1_sel:WORD_1
	v_sub_f16_e32 v39, v18, v22
	v_sub_f16_e32 v40, v22, v18
	v_add_f16_sdwa v35, v22, v16 dst_sel:DWORD dst_unused:UNUSED_PAD src0_sel:WORD_1 src1_sel:WORD_1
	v_sub_f16_e32 v41, v22, v16
	v_sub_f16_sdwa v42, v18, v22 dst_sel:DWORD dst_unused:UNUSED_PAD src0_sel:WORD_1 src1_sel:WORD_1
	v_sub_f16_sdwa v43, v22, v18 dst_sel:DWORD dst_unused:UNUSED_PAD src0_sel:WORD_1 src1_sel:WORD_1
	v_pk_add_f16 v21, v21, v15
	v_pk_add_f16 v22, v23, v16
	v_sub_f16_sdwa v37, v18, v20 dst_sel:DWORD dst_unused:UNUSED_PAD src0_sel:WORD_1 src1_sel:WORD_1
	v_add_f16_e32 v44, v18, v20
	v_sub_f16_e32 v45, v18, v20
	v_add_f16_sdwa v18, v18, v20 dst_sel:DWORD dst_unused:UNUSED_PAD src0_sel:WORD_1 src1_sel:WORD_1
	v_sub_f16_e32 v23, v19, v15
	v_sub_f16_e32 v46, v15, v19
	v_sub_f16_sdwa v47, v19, v15 dst_sel:DWORD dst_unused:UNUSED_PAD src0_sel:WORD_1 src1_sel:WORD_1
	v_sub_f16_sdwa v15, v15, v19 dst_sel:DWORD dst_unused:UNUSED_PAD src0_sel:WORD_1 src1_sel:WORD_1
	v_sub_f16_e32 v48, v20, v16
	v_sub_f16_e32 v49, v16, v20
	v_sub_f16_sdwa v50, v20, v16 dst_sel:DWORD dst_unused:UNUSED_PAD src0_sel:WORD_1 src1_sel:WORD_1
	v_sub_f16_sdwa v16, v16, v20 dst_sel:DWORD dst_unused:UNUSED_PAD src0_sel:WORD_1 src1_sel:WORD_1
	v_pk_add_f16 v19, v21, v19
	v_pk_add_f16 v21, v22, v20
	v_sub_f16_e32 v20, v0, v2
	v_sub_f16_e32 v22, v8, v4
	v_add_f16_e32 v20, v22, v20
	v_add_f16_e32 v22, v4, v2
	v_fma_f16 v22, v22, -0.5, v10
	s_movk_i32 s16, 0x3b9c
	v_sub_f16_sdwa v51, v8, v0 dst_sel:DWORD dst_unused:UNUSED_PAD src0_sel:WORD_1 src1_sel:WORD_1
	s_mov_b32 s17, 0xbb9c
	s_movk_i32 s12, 0x38b4
	v_fma_f16 v52, v51, s16, v22
	v_sub_f16_sdwa v53, v4, v2 dst_sel:DWORD dst_unused:UNUSED_PAD src0_sel:WORD_1 src1_sel:WORD_1
	v_fma_f16 v22, v51, s17, v22
	s_mov_b32 s18, 0xb8b4
	v_fma_f16 v52, v53, s12, v52
	s_movk_i32 s13, 0x34f2
	v_fma_f16 v22, v53, s18, v22
	v_fma_f16 v52, v20, s13, v52
	;; [unrolled: 1-line block ×3, first 2 shown]
	v_sub_f16_e32 v22, v2, v0
	v_sub_f16_e32 v54, v4, v8
	v_add_f16_e32 v22, v54, v22
	v_add_f16_e32 v54, v8, v0
	v_fma_f16 v54, v54, -0.5, v10
	v_fma_f16 v68, v53, s17, v54
	v_fma_f16 v53, v53, s16, v54
	;; [unrolled: 1-line block ×6, first 2 shown]
	v_sub_f16_sdwa v51, v8, v4 dst_sel:DWORD dst_unused:UNUSED_PAD src0_sel:WORD_1 src1_sel:WORD_1
	v_sub_f16_sdwa v54, v0, v2 dst_sel:DWORD dst_unused:UNUSED_PAD src0_sel:WORD_1 src1_sel:WORD_1
	v_add_f16_e32 v51, v51, v54
	v_add_f16_sdwa v54, v4, v2 dst_sel:DWORD dst_unused:UNUSED_PAD src0_sel:WORD_1 src1_sel:WORD_1
	v_lshrrev_b32_e32 v68, 16, v10
	v_fma_f16 v54, v54, -0.5, v68
	v_sub_f16_e32 v69, v8, v0
	v_fma_f16 v70, v69, s17, v54
	v_sub_f16_e32 v71, v4, v2
	v_fma_f16 v54, v69, s16, v54
	v_fma_f16 v70, v71, s18, v70
	;; [unrolled: 1-line block ×5, first 2 shown]
	v_add_f16_sdwa v54, v8, v0 dst_sel:DWORD dst_unused:UNUSED_PAD src0_sel:WORD_1 src1_sel:WORD_1
	v_fma_f16 v54, v54, -0.5, v68
	v_sub_f16_sdwa v68, v4, v8 dst_sel:DWORD dst_unused:UNUSED_PAD src0_sel:WORD_1 src1_sel:WORD_1
	v_sub_f16_sdwa v72, v2, v0 dst_sel:DWORD dst_unused:UNUSED_PAD src0_sel:WORD_1 src1_sel:WORD_1
	v_add_f16_e32 v68, v68, v72
	v_fma_f16 v72, v71, s16, v54
	v_fma_f16 v54, v71, s17, v54
	;; [unrolled: 1-line block ×6, first 2 shown]
	v_sub_f16_e32 v68, v1, v3
	v_sub_f16_e32 v71, v9, v5
	v_add_f16_e32 v68, v71, v68
	v_add_f16_e32 v71, v5, v3
	v_fma_f16 v71, v71, -0.5, v11
	v_sub_f16_sdwa v72, v9, v1 dst_sel:DWORD dst_unused:UNUSED_PAD src0_sel:WORD_1 src1_sel:WORD_1
	v_fma_f16 v73, v72, s16, v71
	v_sub_f16_sdwa v74, v5, v3 dst_sel:DWORD dst_unused:UNUSED_PAD src0_sel:WORD_1 src1_sel:WORD_1
	v_fma_f16 v71, v72, s17, v71
	v_fma_f16 v73, v74, s12, v73
	v_fma_f16 v71, v74, s18, v71
	v_fma_f16 v73, v68, s13, v73
	v_fma_f16 v68, v68, s13, v71
	v_sub_f16_e32 v71, v3, v1
	v_sub_f16_e32 v75, v5, v9
	v_add_f16_e32 v71, v75, v71
	v_add_f16_e32 v75, v9, v1
	v_fma_f16 v75, v75, -0.5, v11
	v_fma_f16 v76, v74, s17, v75
	v_fma_f16 v74, v74, s16, v75
	;; [unrolled: 1-line block ×6, first 2 shown]
	v_pk_add_f16 v72, v10, v8
	v_pk_add_f16 v75, v11, v9
	v_lshrrev_b32_e32 v8, 16, v11
	v_sub_f16_sdwa v10, v9, v5 dst_sel:DWORD dst_unused:UNUSED_PAD src0_sel:WORD_1 src1_sel:WORD_1
	v_sub_f16_sdwa v11, v1, v3 dst_sel:DWORD dst_unused:UNUSED_PAD src0_sel:WORD_1 src1_sel:WORD_1
	v_add_f16_e32 v10, v10, v11
	v_add_f16_sdwa v11, v5, v3 dst_sel:DWORD dst_unused:UNUSED_PAD src0_sel:WORD_1 src1_sel:WORD_1
	v_fma_f16 v11, v11, -0.5, v8
	v_sub_f16_e32 v76, v9, v1
	v_fma_f16 v77, v76, s17, v11
	v_sub_f16_e32 v78, v5, v3
	v_fma_f16 v11, v76, s16, v11
	v_fma_f16 v77, v78, s18, v77
	;; [unrolled: 1-line block ×5, first 2 shown]
	v_add_f16_sdwa v11, v9, v1 dst_sel:DWORD dst_unused:UNUSED_PAD src0_sel:WORD_1 src1_sel:WORD_1
	v_fma_f16 v8, v11, -0.5, v8
	v_sub_f16_sdwa v9, v5, v9 dst_sel:DWORD dst_unused:UNUSED_PAD src0_sel:WORD_1 src1_sel:WORD_1
	v_sub_f16_sdwa v11, v3, v1 dst_sel:DWORD dst_unused:UNUSED_PAD src0_sel:WORD_1 src1_sel:WORD_1
	v_add_f16_e32 v9, v9, v11
	v_fma_f16 v11, v78, s16, v8
	v_fma_f16 v11, v76, s18, v11
	;; [unrolled: 1-line block ×5, first 2 shown]
	v_mul_f16_e32 v76, 0x3b9c, v11
	v_fma_f16 v76, v74, s13, v76
	v_mul_f16_e32 v74, 0xbb9c, v74
	v_fma_f16 v8, v9, s13, v8
	v_fma_f16 v11, v11, s13, v74
	v_mul_f16_e32 v74, 0x34f2, v71
	v_fma_f16 v74, v8, s16, -v74
	v_mul_f16_e32 v8, 0x34f2, v8
	v_fma_f16 v8, v71, s17, -v8
	;; [unrolled: 2-line block ×4, first 2 shown]
	v_mul_f16_e32 v9, 0x3a79, v73
	v_add_f16_e32 v80, v51, v10
	v_sub_f16_e32 v51, v51, v10
	v_fma_f16 v10, v24, -0.5, v6
	v_fma_f16 v9, v77, s12, v9
	v_add_f16_e32 v78, v20, v71
	v_sub_f16_e32 v79, v20, v71
	v_add_f16_e32 v71, v54, v8
	v_sub_f16_e32 v54, v54, v8
	v_fma_f16 v8, v25, s16, v10
	v_fma_f16 v10, v25, s17, v10
	v_add_f16_e32 v68, v52, v9
	v_sub_f16_e32 v52, v52, v9
	v_add_f16_e32 v9, v27, v23
	v_fma_f16 v8, v26, s12, v8
	v_fma_f16 v10, v26, s18, v10
	s_movk_i32 s4, 0x3a79
	v_mul_f16_e32 v73, 0xb8b4, v73
	v_fma_f16 v8, v9, s13, v8
	v_fma_f16 v9, v9, s13, v10
	v_fma_f16 v10, v28, -0.5, v6
	v_fma_f16 v73, v77, s4, v73
	v_add_f16_e32 v77, v53, v76
	v_sub_f16_e32 v53, v53, v76
	v_add_f16_e32 v76, v22, v74
	v_sub_f16_e32 v74, v22, v74
	v_fma_f16 v22, v26, s17, v10
	v_fma_f16 v10, v26, s16, v10
	v_add_f16_e32 v20, v70, v73
	v_sub_f16_e32 v73, v70, v73
	v_add_f16_e32 v70, v69, v11
	v_sub_f16_e32 v69, v69, v11
	v_add_f16_e32 v11, v29, v46
	v_fma_f16 v22, v25, s12, v22
	v_fma_f16 v23, v25, s18, v10
	;; [unrolled: 1-line block ×4, first 2 shown]
	v_lshrrev_b32_e32 v23, 16, v6
	v_fma_f16 v24, v30, -0.5, v23
	v_fma_f16 v23, v34, -0.5, v23
	v_fma_f16 v6, v31, s17, v24
	v_fma_f16 v24, v31, s16, v24
	v_add_f16_e32 v15, v17, v15
	v_fma_f16 v17, v32, s16, v23
	v_add_f16_e32 v22, v33, v47
	v_fma_f16 v6, v32, s18, v6
	v_fma_f16 v24, v32, s12, v24
	;; [unrolled: 1-line block ×8, first 2 shown]
	v_fma_f16 v17, v36, -0.5, v7
	v_fma_f16 v25, v15, s13, v23
	v_fma_f16 v23, v37, s16, v17
	;; [unrolled: 1-line block ×3, first 2 shown]
	v_fma_f16 v26, v44, -0.5, v7
	v_add_f16_e32 v15, v39, v48
	v_fma_f16 v23, v38, s12, v23
	v_fma_f16 v17, v38, s18, v17
	;; [unrolled: 1-line block ×5, first 2 shown]
	v_add_f16_e32 v17, v40, v49
	v_fma_f16 v27, v37, s12, v27
	v_lshrrev_b32_e32 v7, 16, v7
	v_fma_f16 v26, v38, s16, v26
	v_fma_f16 v28, v17, s13, v27
	v_fma_f16 v27, v35, -0.5, v7
	v_fma_f16 v7, v18, -0.5, v7
	v_fma_f16 v26, v37, s18, v26
	v_fma_f16 v29, v45, s17, v27
	;; [unrolled: 1-line block ×5, first 2 shown]
	v_add_f16_e32 v26, v42, v50
	v_fma_f16 v29, v41, s18, v29
	v_fma_f16 v27, v45, s16, v27
	v_add_f16_e32 v16, v43, v16
	v_fma_f16 v18, v45, s18, v18
	v_fma_f16 v7, v45, s12, v7
	;; [unrolled: 1-line block ×6, first 2 shown]
	v_mul_f16_e32 v7, 0x3a79, v23
	v_mul_f16_e32 v23, 0xb8b4, v23
	v_fma_f16 v32, v26, s13, v27
	v_fma_f16 v27, v29, s4, v23
	v_mul_f16_e32 v23, 0x3b9c, v18
	v_fma_f16 v26, v28, s13, v23
	v_mul_f16_e32 v23, 0xbb9c, v28
	v_fma_f16 v7, v29, s12, v7
	v_fma_f16 v29, v18, s13, v23
	v_mul_f16_e32 v18, 0x34f2, v17
	v_pk_add_f16 v4, v72, v4
	v_pk_add_f16 v5, v75, v5
	v_fma_f16 v28, v16, s16, -v18
	v_mul_f16_e32 v16, 0x34f2, v16
	v_pk_add_f16 v2, v4, v2
	v_pk_add_f16 v3, v5, v3
	v_fma_f16 v31, v17, s17, -v16
	v_mul_f16_e32 v16, 0x3a79, v15
	v_pk_add_f16 v4, v2, v0
	v_pk_add_f16 v5, v3, v1
	v_mul_lo_u16_e32 v2, 10, v65
	v_fma_f16 v30, v32, s12, -v16
	v_mul_f16_e32 v16, 0x3a79, v32
	v_pack_b32_f16 v1, v76, v71
	v_pack_b32_f16 v0, v77, v70
	v_lshl_add_u32 v75, v2, 2, v67
	v_pack_b32_f16 v3, v68, v20
	v_pk_add_f16 v2, v4, v5
	v_fma_f16 v32, v15, s18, -v16
	v_add_co_u32_e32 v33, vcc, 30, v65
	s_barrier
	ds_write2_b64 v75, v[2:3], v[0:1] offset1:1
	v_pack_b32_f16 v0, v52, v73
	v_pack_b32_f16 v1, v53, v69
	v_pk_add_f16 v3, v4, v5 neg_lo:[0,1] neg_hi:[0,1]
	v_pack_b32_f16 v2, v78, v80
	v_addc_co_u32_e64 v23, s[4:5], 0, 0, vcc
	v_sub_f16_e32 v15, v8, v7
	v_sub_f16_e32 v16, v10, v26
	;; [unrolled: 1-line block ×4, first 2 shown]
	v_pk_add_f16 v20, v19, v21 neg_lo:[0,1] neg_hi:[0,1]
	v_sub_f16_e32 v70, v6, v27
	v_sub_f16_e32 v72, v24, v29
	;; [unrolled: 1-line block ×4, first 2 shown]
	ds_write2_b64 v75, v[2:3], v[0:1] offset0:2 offset1:3
	v_pack_b32_f16 v1, v79, v51
	v_pack_b32_f16 v0, v74, v54
	v_mul_u32_u24_e32 v69, 10, v33
	ds_write_b64 v75, v[0:1] offset:32
	s_and_saveexec_b64 s[4:5], s[0:1]
	s_cbranch_execz .LBB0_7
; %bb.6:
	v_add_f16_e32 v1, v25, v31
	v_add_f16_e32 v2, v24, v29
	;; [unrolled: 1-line block ×8, first 2 shown]
	v_lshl_add_u32 v8, v69, 2, v67
	v_pk_add_f16 v0, v19, v21
	v_pack_b32_f16 v3, v3, v1
	v_pack_b32_f16 v2, v9, v2
	;; [unrolled: 1-line block ×3, first 2 shown]
	s_mov_b32 s19, 0x5040100
	ds_write2_b64 v8, v[0:1], v[2:3] offset1:1
	v_perm_b32 v1, v72, v16, s19
	v_perm_b32 v0, v70, v15, s19
	v_pack_b32_f16 v19, v6, v4
	ds_write2_b64 v8, v[19:20], v[0:1] offset0:2 offset1:3
	v_perm_b32 v1, v73, v18, s19
	v_perm_b32 v0, v71, v17, s19
	ds_write_b64 v8, v[0:1] offset:32
.LBB0_7:
	s_or_b64 exec, exec, s[4:5]
	s_movk_i32 s4, 0xcd
	v_add_co_u32_e32 v19, vcc, 60, v65
	v_mul_lo_u16_sdwa v8, v65, s4 dst_sel:DWORD dst_unused:UNUSED_PAD src0_sel:BYTE_0 src1_sel:DWORD
	v_mul_lo_u16_sdwa v0, v19, s4 dst_sel:DWORD dst_unused:UNUSED_PAD src0_sel:BYTE_0 src1_sel:DWORD
	v_mul_lo_u16_sdwa v5, v33, s4 dst_sel:DWORD dst_unused:UNUSED_PAD src0_sel:BYTE_0 src1_sel:DWORD
	v_lshrrev_b16_e32 v42, 11, v8
	v_lshrrev_b16_e32 v32, 11, v0
	;; [unrolled: 1-line block ×3, first 2 shown]
	v_mul_lo_u16_e32 v8, 10, v42
	v_mul_lo_u16_e32 v0, 10, v32
	;; [unrolled: 1-line block ×3, first 2 shown]
	v_sub_u16_e32 v43, v65, v8
	v_mov_b32_e32 v4, 4
	v_sub_u16_e32 v38, v19, v0
	v_sub_u16_e32 v40, v33, v5
	v_lshlrev_b16_e32 v8, 2, v43
	v_lshlrev_b32_sdwa v0, v4, v38 dst_sel:DWORD dst_unused:UNUSED_PAD src0_sel:DWORD src1_sel:BYTE_0
	v_lshlrev_b32_sdwa v4, v4, v40 dst_sel:DWORD dst_unused:UNUSED_PAD src0_sel:DWORD src1_sel:BYTE_0
	v_and_b32_e32 v8, 0xfc, v8
	s_waitcnt lgkmcnt(0)
	s_barrier
	global_load_dwordx4 v[0:3], v0, s[2:3]
	v_lshlrev_b32_e32 v8, 2, v8
	global_load_dwordx4 v[4:7], v4, s[2:3]
	v_add_u32_e32 v41, 0x200, v55
	global_load_dwordx4 v[8:11], v8, s[2:3]
	ds_read2_b32 v[21:22], v55 offset1:30
	ds_read2_b32 v[24:25], v55 offset0:60 offset1:90
	ds_read2_b32 v[26:27], v55 offset0:180 offset1:210
	v_add_u32_e32 v49, 0x400, v55
	ds_read2_b32 v[28:29], v55 offset0:120 offset1:150
	ds_read_b32 v44, v55 offset:1680
	ds_read2_b32 v[30:31], v41 offset0:112 offset1:142
	ds_read2_b32 v[34:35], v49 offset0:104 offset1:134
	;; [unrolled: 1-line block ×3, first 2 shown]
	s_waitcnt lgkmcnt(4)
	v_lshrrev_b32_e32 v50, 16, v28
	v_lshrrev_b32_e32 v46, 16, v25
	;; [unrolled: 1-line block ×4, first 2 shown]
	s_waitcnt lgkmcnt(2)
	v_lshrrev_b32_e32 v68, 16, v31
	s_waitcnt lgkmcnt(0)
	v_lshrrev_b32_e32 v76, 16, v36
	v_lshrrev_b32_e32 v77, 16, v35
	;; [unrolled: 1-line block ×10, first 2 shown]
	s_waitcnt vmcnt(0)
	s_barrier
	s_movk_i32 s4, 0xffec
	v_lshlrev_b32_e32 v19, 3, v19
	v_mul_f16_sdwa v81, v29, v0 dst_sel:DWORD dst_unused:UNUSED_PAD src0_sel:DWORD src1_sel:WORD_1
	v_mul_f16_sdwa v80, v53, v0 dst_sel:DWORD dst_unused:UNUSED_PAD src0_sel:DWORD src1_sel:WORD_1
	;; [unrolled: 1-line block ×8, first 2 shown]
	v_fma_f16 v50, v50, v4, v83
	v_fma_f16 v51, v51, v5, v85
	v_mul_f16_sdwa v83, v47, v9 dst_sel:DWORD dst_unused:UNUSED_PAD src0_sel:DWORD src1_sel:WORD_1
	v_mul_f16_sdwa v85, v68, v10 dst_sel:DWORD dst_unused:UNUSED_PAD src0_sel:DWORD src1_sel:WORD_1
	;; [unrolled: 1-line block ×5, first 2 shown]
	v_fma_f16 v53, v53, v0, v81
	v_fma_f16 v28, v28, v4, -v82
	v_fma_f16 v27, v27, v5, -v84
	;; [unrolled: 1-line block ×4, first 2 shown]
	v_mul_f16_sdwa v81, v46, v8 dst_sel:DWORD dst_unused:UNUSED_PAD src0_sel:DWORD src1_sel:WORD_1
	v_mul_f16_sdwa v82, v25, v8 dst_sel:DWORD dst_unused:UNUSED_PAD src0_sel:DWORD src1_sel:WORD_1
	;; [unrolled: 1-line block ×5, first 2 shown]
	v_fma_f16 v26, v26, v9, -v83
	v_fma_f16 v31, v31, v10, -v85
	;; [unrolled: 1-line block ×3, first 2 shown]
	v_fma_f16 v76, v76, v6, v87
	v_fma_f16 v80, v30, v1, -v90
	v_mul_f16_sdwa v87, v74, v11 dst_sel:DWORD dst_unused:UNUSED_PAD src0_sel:DWORD src1_sel:WORD_1
	v_fma_f16 v25, v25, v8, -v81
	v_fma_f16 v46, v46, v8, v82
	v_fma_f16 v74, v74, v11, v88
	v_mul_f16_sdwa v30, v30, v1 dst_sel:DWORD dst_unused:UNUSED_PAD src0_sel:DWORD src1_sel:WORD_1
	v_add_f16_e32 v81, v26, v31
	v_fma_f16 v47, v47, v9, v84
	v_fma_f16 v68, v68, v10, v86
	v_fma_f16 v34, v34, v11, -v87
	v_fma_f16 v30, v78, v1, v30
	v_mul_f16_sdwa v78, v79, v2 dst_sel:DWORD dst_unused:UNUSED_PAD src0_sel:DWORD src1_sel:WORD_1
	v_fma_f16 v81, v81, -0.5, v21
	v_sub_f16_e32 v82, v46, v74
	v_fma_f16 v78, v37, v2, -v78
	v_mul_f16_sdwa v37, v37, v2 dst_sel:DWORD dst_unused:UNUSED_PAD src0_sel:DWORD src1_sel:WORD_1
	v_fma_f16 v83, v82, s16, v81
	v_sub_f16_e32 v84, v47, v68
	v_sub_f16_e32 v85, v25, v26
	;; [unrolled: 1-line block ×3, first 2 shown]
	v_fma_f16 v81, v82, s17, v81
	v_fma_f16 v37, v79, v2, v37
	v_mul_f16_sdwa v79, v54, v3 dst_sel:DWORD dst_unused:UNUSED_PAD src0_sel:DWORD src1_sel:WORD_1
	v_fma_f16 v83, v84, s12, v83
	v_add_f16_e32 v85, v85, v86
	v_fma_f16 v81, v84, s18, v81
	v_fma_f16 v79, v44, v3, -v79
	v_mul_f16_sdwa v44, v44, v3 dst_sel:DWORD dst_unused:UNUSED_PAD src0_sel:DWORD src1_sel:WORD_1
	v_fma_f16 v83, v85, s13, v83
	v_fma_f16 v81, v85, s13, v81
	v_add_f16_e32 v85, v25, v34
	v_fma_f16 v44, v54, v3, v44
	v_add_f16_e32 v54, v21, v25
	v_fma_f16 v21, v85, -0.5, v21
	v_add_f16_e32 v54, v54, v26
	v_fma_f16 v85, v84, s17, v21
	v_fma_f16 v21, v84, s16, v21
	v_add_f16_e32 v84, v47, v68
	v_add_f16_e32 v54, v54, v31
	v_sub_f16_e32 v86, v26, v25
	v_sub_f16_e32 v87, v31, v34
	v_fma_f16 v84, v84, -0.5, v45
	v_sub_f16_e32 v25, v25, v34
	v_add_f16_e32 v54, v54, v34
	v_fma_f16 v85, v82, s12, v85
	v_add_f16_e32 v86, v86, v87
	v_fma_f16 v21, v82, s18, v21
	v_fma_f16 v34, v25, s17, v84
	v_sub_f16_e32 v26, v26, v31
	v_fma_f16 v85, v86, s13, v85
	v_fma_f16 v21, v86, s13, v21
	;; [unrolled: 1-line block ×3, first 2 shown]
	v_sub_f16_e32 v34, v46, v47
	v_sub_f16_e32 v86, v74, v68
	v_fma_f16 v84, v25, s16, v84
	v_add_f16_e32 v34, v34, v86
	v_fma_f16 v84, v26, s12, v84
	v_fma_f16 v31, v34, s13, v31
	;; [unrolled: 1-line block ×3, first 2 shown]
	v_add_f16_e32 v84, v46, v74
	v_add_f16_e32 v82, v45, v46
	v_fma_f16 v45, v84, -0.5, v45
	v_add_f16_e32 v82, v82, v47
	v_fma_f16 v84, v26, s16, v45
	v_sub_f16_e32 v46, v47, v46
	v_sub_f16_e32 v47, v68, v74
	v_fma_f16 v26, v26, s17, v45
	v_fma_f16 v77, v77, v7, v89
	;; [unrolled: 1-line block ×3, first 2 shown]
	v_add_f16_e32 v46, v46, v47
	v_fma_f16 v25, v25, s12, v26
	v_add_f16_e32 v45, v27, v36
	v_add_f16_e32 v82, v82, v68
	v_fma_f16 v47, v46, s13, v84
	v_fma_f16 v25, v46, s13, v25
	v_fma_f16 v45, v45, -0.5, v22
	v_sub_f16_e32 v46, v50, v77
	v_add_f16_e32 v82, v82, v74
	v_fma_f16 v68, v46, s16, v45
	v_sub_f16_e32 v74, v51, v76
	v_sub_f16_e32 v84, v28, v27
	;; [unrolled: 1-line block ×3, first 2 shown]
	v_fma_f16 v45, v46, s17, v45
	v_fma_f16 v68, v74, s12, v68
	v_add_f16_e32 v84, v84, v86
	v_fma_f16 v45, v74, s18, v45
	v_fma_f16 v68, v84, s13, v68
	;; [unrolled: 1-line block ×3, first 2 shown]
	v_add_f16_e32 v84, v28, v35
	v_add_f16_e32 v26, v22, v28
	v_fma_f16 v22, v84, -0.5, v22
	v_add_f16_e32 v26, v26, v27
	v_fma_f16 v84, v74, s17, v22
	v_sub_f16_e32 v86, v27, v28
	v_sub_f16_e32 v87, v36, v35
	v_fma_f16 v22, v74, s16, v22
	v_add_f16_e32 v74, v51, v76
	v_add_f16_e32 v26, v26, v36
	v_fma_f16 v84, v46, s12, v84
	v_add_f16_e32 v86, v86, v87
	v_fma_f16 v22, v46, s18, v22
	v_fma_f16 v74, v74, -0.5, v48
	v_sub_f16_e32 v28, v28, v35
	v_add_f16_e32 v26, v26, v35
	v_fma_f16 v84, v86, s13, v84
	v_fma_f16 v22, v86, s13, v22
	;; [unrolled: 1-line block ×3, first 2 shown]
	v_sub_f16_e32 v27, v27, v36
	v_sub_f16_e32 v36, v50, v51
	;; [unrolled: 1-line block ×3, first 2 shown]
	v_fma_f16 v74, v28, s16, v74
	v_fma_f16 v35, v27, s18, v35
	v_add_f16_e32 v36, v36, v86
	v_fma_f16 v74, v27, s12, v74
	v_fma_f16 v35, v36, s13, v35
	;; [unrolled: 1-line block ×3, first 2 shown]
	v_add_f16_e32 v74, v50, v77
	v_add_f16_e32 v46, v48, v50
	v_fma_f16 v48, v74, -0.5, v48
	v_add_f16_e32 v46, v46, v51
	v_fma_f16 v74, v27, s16, v48
	v_sub_f16_e32 v50, v51, v50
	v_sub_f16_e32 v51, v76, v77
	v_fma_f16 v27, v27, s17, v48
	v_fma_f16 v74, v28, s18, v74
	v_add_f16_e32 v50, v50, v51
	v_fma_f16 v27, v28, s12, v27
	v_add_f16_e32 v48, v80, v78
	v_add_f16_e32 v46, v46, v76
	v_fma_f16 v51, v50, s13, v74
	v_fma_f16 v27, v50, s13, v27
	v_fma_f16 v48, v48, -0.5, v24
	v_sub_f16_e32 v50, v53, v44
	v_add_f16_e32 v46, v46, v77
	v_fma_f16 v74, v50, s16, v48
	v_sub_f16_e32 v76, v30, v37
	v_sub_f16_e32 v77, v29, v80
	;; [unrolled: 1-line block ×3, first 2 shown]
	v_fma_f16 v74, v76, s12, v74
	v_add_f16_e32 v77, v77, v86
	v_fma_f16 v86, v77, s13, v74
	v_fma_f16 v48, v50, s17, v48
	v_add_f16_e32 v74, v29, v79
	v_add_f16_e32 v28, v24, v29
	v_fma_f16 v48, v76, s18, v48
	v_fma_f16 v24, v74, -0.5, v24
	v_fma_f16 v48, v77, s13, v48
	v_fma_f16 v74, v76, s17, v24
	v_sub_f16_e32 v77, v80, v29
	v_sub_f16_e32 v87, v78, v79
	v_fma_f16 v74, v50, s12, v74
	v_add_f16_e32 v77, v77, v87
	v_add_f16_e32 v28, v28, v80
	v_fma_f16 v87, v77, s13, v74
	v_fma_f16 v24, v76, s16, v24
	v_add_f16_e32 v74, v30, v37
	v_add_f16_e32 v28, v28, v78
	v_fma_f16 v24, v50, s18, v24
	v_fma_f16 v74, v74, -0.5, v52
	v_sub_f16_e32 v29, v29, v79
	v_add_f16_e32 v28, v28, v79
	v_fma_f16 v24, v77, s13, v24
	v_fma_f16 v76, v29, s17, v74
	v_sub_f16_e32 v77, v80, v78
	v_sub_f16_e32 v78, v53, v30
	;; [unrolled: 1-line block ×3, first 2 shown]
	v_fma_f16 v74, v29, s16, v74
	v_add_f16_e32 v50, v52, v53
	v_fma_f16 v76, v77, s18, v76
	v_add_f16_e32 v78, v78, v79
	;; [unrolled: 2-line block ×3, first 2 shown]
	v_fma_f16 v79, v78, s13, v76
	v_fma_f16 v78, v78, s13, v74
	v_add_f16_e32 v74, v53, v44
	v_add_f16_e32 v50, v50, v37
	v_fma_f16 v52, v74, -0.5, v52
	v_add_f16_e32 v50, v50, v44
	v_fma_f16 v74, v77, s16, v52
	v_sub_f16_e32 v30, v30, v53
	v_sub_f16_e32 v37, v37, v44
	v_fma_f16 v44, v77, s17, v52
	v_fma_f16 v74, v29, s18, v74
	v_add_f16_e32 v30, v30, v37
	v_fma_f16 v29, v29, s12, v44
	v_fma_f16 v37, v30, s13, v74
	;; [unrolled: 1-line block ×3, first 2 shown]
	v_mad_legacy_u16 v30, v42, 50, v43
	v_and_b32_e32 v30, 0xff, v30
	v_lshl_add_u32 v74, v30, 2, v67
	v_pack_b32_f16 v30, v54, v82
	v_pack_b32_f16 v31, v83, v31
	ds_write2_b32 v74, v30, v31 offset1:10
	v_pack_b32_f16 v30, v85, v47
	v_pack_b32_f16 v21, v21, v25
	ds_write2_b32 v74, v30, v21 offset0:20 offset1:30
	v_pack_b32_f16 v21, v81, v34
	ds_write_b32 v74, v21 offset:160
	v_mul_u32_u24_e32 v21, 50, v39
	v_add_u32_sdwa v21, v21, v40 dst_sel:DWORD dst_unused:UNUSED_PAD src0_sel:DWORD src1_sel:BYTE_0
	v_lshl_add_u32 v76, v21, 2, v67
	v_pack_b32_f16 v21, v26, v46
	v_pack_b32_f16 v25, v68, v35
	ds_write2_b32 v76, v21, v25 offset1:10
	v_pack_b32_f16 v21, v84, v51
	v_pack_b32_f16 v22, v22, v27
	ds_write2_b32 v76, v21, v22 offset0:20 offset1:30
	v_pack_b32_f16 v21, v45, v36
	ds_write_b32 v76, v21 offset:160
	v_mul_u32_u24_e32 v21, 50, v32
	v_add_u32_sdwa v21, v21, v38 dst_sel:DWORD dst_unused:UNUSED_PAD src0_sel:DWORD src1_sel:BYTE_0
	v_lshl_add_u32 v77, v21, 2, v67
	v_pack_b32_f16 v21, v28, v50
	v_pack_b32_f16 v22, v86, v79
	ds_write2_b32 v77, v21, v22 offset1:10
	v_pack_b32_f16 v22, v24, v29
	v_add_co_u32_e32 v24, vcc, s4, v65
	v_addc_co_u32_e64 v25, s[4:5], 0, -1, vcc
	v_cmp_gt_u16_e32 vcc, 20, v65
	v_pack_b32_f16 v21, v87, v37
	v_cndmask_b32_e32 v32, v25, v23, vcc
	v_cndmask_b32_e32 v31, v24, v33, vcc
	ds_write2_b32 v77, v21, v22 offset0:20 offset1:30
	v_pack_b32_f16 v21, v48, v78
	v_lshlrev_b32_e32 v48, 3, v65
	v_lshlrev_b64 v[23:24], 3, v[31:32]
	ds_write_b32 v77, v21 offset:160
	s_waitcnt lgkmcnt(0)
	s_barrier
	global_load_dwordx2 v[21:22], v48, s[2:3] offset:160
	v_mov_b32_e32 v25, s3
	v_add_co_u32_e32 v23, vcc, s2, v23
	v_addc_co_u32_e32 v24, vcc, v25, v24, vcc
	global_load_dwordx2 v[25:26], v[23:24], off offset:160
	v_add_co_u32_e32 v32, vcc, 0x5a, v65
	v_mov_b32_e32 v29, 41
	v_mul_lo_u16_sdwa v23, v32, v29 dst_sel:DWORD dst_unused:UNUSED_PAD src0_sel:BYTE_0 src1_sel:DWORD
	v_lshrrev_b16_e32 v40, 11, v23
	v_mul_lo_u16_e32 v23, 50, v40
	v_sub_u16_e32 v50, v32, v23
	v_mov_b32_e32 v23, 3
	v_lshlrev_b32_sdwa v30, v23, v50 dst_sel:DWORD dst_unused:UNUSED_PAD src0_sel:DWORD src1_sel:BYTE_0
	global_load_dwordx2 v[23:24], v30, s[2:3] offset:160
	global_load_dwordx2 v[27:28], v48, s[2:3] offset:240
	s_movk_i32 s4, 0x78
	v_add_co_u32_e32 v51, vcc, s4, v65
	v_mul_lo_u16_sdwa v29, v51, v29 dst_sel:DWORD dst_unused:UNUSED_PAD src0_sel:BYTE_0 src1_sel:DWORD
	v_lshrrev_b16_e32 v29, 11, v29
	v_mul_lo_u16_e32 v29, 50, v29
	v_sub_u16_e32 v29, v51, v29
	v_and_b32_e32 v52, 0xff, v29
	v_lshlrev_b32_e32 v29, 3, v52
	global_load_dwordx2 v[29:30], v29, s[2:3] offset:160
	ds_read2_b32 v[34:35], v55 offset1:30
	ds_read2_b32 v[36:37], v55 offset0:120 offset1:150
	ds_read2_b32 v[38:39], v49 offset0:44 offset1:74
	;; [unrolled: 1-line block ×5, first 2 shown]
	ds_read_b32 v82, v55 offset:1680
	s_waitcnt lgkmcnt(5)
	v_lshrrev_b32_e32 v54, 16, v37
	s_waitcnt lgkmcnt(4)
	v_lshrrev_b32_e32 v68, 16, v38
	;; [unrolled: 2-line block ×3, first 2 shown]
	v_lshrrev_b32_e32 v80, 16, v39
	v_lshrrev_b32_e32 v81, 16, v43
	s_waitcnt lgkmcnt(2)
	v_lshrrev_b32_e32 v83, 16, v44
	s_waitcnt lgkmcnt(1)
	v_lshrrev_b32_e32 v84, 16, v46
	v_lshrrev_b32_e32 v85, 16, v45
	;; [unrolled: 1-line block ×3, first 2 shown]
	s_waitcnt lgkmcnt(0)
	v_lshrrev_b32_e32 v87, 16, v82
	v_lshrrev_b32_e32 v53, 16, v34
	s_movk_i32 s4, 0x3aee
	s_mov_b32 s5, 0xbaee
	v_lshrrev_b32_e32 v78, 16, v35
	v_cmp_lt_u16_e32 vcc, 19, v65
	v_lshlrev_b32_e32 v33, 3, v33
	s_waitcnt vmcnt(4)
	v_mul_f16_sdwa v88, v54, v21 dst_sel:DWORD dst_unused:UNUSED_PAD src0_sel:DWORD src1_sel:WORD_1
	v_fma_f16 v88, v37, v21, -v88
	v_mul_f16_sdwa v37, v37, v21 dst_sel:DWORD dst_unused:UNUSED_PAD src0_sel:DWORD src1_sel:WORD_1
	v_fma_f16 v37, v54, v21, v37
	v_mul_f16_sdwa v54, v68, v22 dst_sel:DWORD dst_unused:UNUSED_PAD src0_sel:DWORD src1_sel:WORD_1
	v_fma_f16 v54, v38, v22, -v54
	v_mul_f16_sdwa v38, v38, v22 dst_sel:DWORD dst_unused:UNUSED_PAD src0_sel:DWORD src1_sel:WORD_1
	v_fma_f16 v38, v68, v22, v38
	s_waitcnt vmcnt(3)
	v_mul_f16_sdwa v68, v79, v25 dst_sel:DWORD dst_unused:UNUSED_PAD src0_sel:DWORD src1_sel:WORD_1
	v_fma_f16 v68, v42, v25, -v68
	v_mul_f16_sdwa v42, v42, v25 dst_sel:DWORD dst_unused:UNUSED_PAD src0_sel:DWORD src1_sel:WORD_1
	v_fma_f16 v42, v79, v25, v42
	v_mul_f16_sdwa v79, v80, v26 dst_sel:DWORD dst_unused:UNUSED_PAD src0_sel:DWORD src1_sel:WORD_1
	v_fma_f16 v79, v39, v26, -v79
	v_mul_f16_sdwa v39, v39, v26 dst_sel:DWORD dst_unused:UNUSED_PAD src0_sel:DWORD src1_sel:WORD_1
	v_fma_f16 v39, v80, v26, v39
	;; [unrolled: 9-line block ×3, first 2 shown]
	v_mul_f16_sdwa v83, v84, v23 dst_sel:DWORD dst_unused:UNUSED_PAD src0_sel:DWORD src1_sel:WORD_1
	v_fma_f16 v83, v46, v23, -v83
	v_mul_f16_sdwa v46, v46, v23 dst_sel:DWORD dst_unused:UNUSED_PAD src0_sel:DWORD src1_sel:WORD_1
	v_fma_f16 v46, v84, v23, v46
	v_mul_f16_sdwa v84, v85, v24 dst_sel:DWORD dst_unused:UNUSED_PAD src0_sel:DWORD src1_sel:WORD_1
	v_fma_f16 v84, v45, v24, -v84
	v_mul_f16_sdwa v45, v45, v24 dst_sel:DWORD dst_unused:UNUSED_PAD src0_sel:DWORD src1_sel:WORD_1
	v_fma_f16 v45, v85, v24, v45
	s_waitcnt vmcnt(0)
	v_mul_f16_sdwa v85, v86, v29 dst_sel:DWORD dst_unused:UNUSED_PAD src0_sel:DWORD src1_sel:WORD_1
	v_fma_f16 v85, v47, v29, -v85
	v_mul_f16_sdwa v47, v47, v29 dst_sel:DWORD dst_unused:UNUSED_PAD src0_sel:DWORD src1_sel:WORD_1
	v_fma_f16 v47, v86, v29, v47
	v_mul_f16_sdwa v86, v87, v30 dst_sel:DWORD dst_unused:UNUSED_PAD src0_sel:DWORD src1_sel:WORD_1
	v_fma_f16 v86, v82, v30, -v86
	v_mul_f16_sdwa v82, v82, v30 dst_sel:DWORD dst_unused:UNUSED_PAD src0_sel:DWORD src1_sel:WORD_1
	v_fma_f16 v82, v87, v30, v82
	v_add_f16_e32 v87, v88, v54
	v_fma_f16 v87, v87, -0.5, v34
	v_sub_f16_e32 v89, v37, v38
	v_fma_f16 v90, v89, s4, v87
	v_fma_f16 v87, v89, s5, v87
	v_add_f16_e32 v89, v53, v37
	v_add_f16_e32 v37, v37, v38
	;; [unrolled: 1-line block ×5, first 2 shown]
	v_fma_f16 v34, v37, -0.5, v53
	v_sub_f16_e32 v37, v88, v54
	v_fma_f16 v53, v37, s5, v34
	v_fma_f16 v37, v37, s4, v34
	v_add_f16_e32 v34, v68, v79
	v_add_f16_e32 v54, v35, v68
	v_fma_f16 v34, v34, -0.5, v35
	v_sub_f16_e32 v35, v42, v39
	v_fma_f16 v88, v35, s4, v34
	v_fma_f16 v91, v35, s5, v34
	v_add_f16_e32 v34, v78, v42
	v_add_f16_e32 v92, v34, v39
	;; [unrolled: 1-line block ×3, first 2 shown]
	v_fma_f16 v39, v34, -0.5, v78
	ds_read2_b32 v[34:35], v55 offset0:60 offset1:90
	v_add_f16_e32 v42, v54, v79
	v_sub_f16_e32 v54, v68, v79
	v_fma_f16 v68, v54, s5, v39
	v_fma_f16 v39, v54, s4, v39
	v_add_f16_e32 v54, v80, v81
	s_waitcnt lgkmcnt(0)
	v_fma_f16 v54, v54, -0.5, v34
	v_sub_f16_e32 v78, v43, v44
	v_fma_f16 v79, v78, s4, v54
	v_fma_f16 v54, v78, s5, v54
	v_lshrrev_b32_e32 v78, 16, v34
	v_add_f16_e32 v93, v78, v43
	v_add_f16_e32 v43, v43, v44
	;; [unrolled: 1-line block ×3, first 2 shown]
	v_fma_f16 v43, v43, -0.5, v78
	v_sub_f16_e32 v44, v80, v81
	v_add_f16_e32 v34, v34, v80
	v_fma_f16 v80, v44, s5, v43
	v_fma_f16 v43, v44, s4, v43
	v_add_f16_e32 v44, v83, v84
	v_add_f16_e32 v34, v34, v81
	v_fma_f16 v44, v44, -0.5, v35
	v_lshrrev_b32_e32 v78, 16, v35
	v_sub_f16_e32 v81, v46, v45
	v_fma_f16 v94, v81, s4, v44
	v_fma_f16 v44, v81, s5, v44
	v_add_f16_e32 v81, v78, v46
	v_add_f16_e32 v81, v81, v45
	;; [unrolled: 1-line block ×3, first 2 shown]
	v_fma_f16 v45, v45, -0.5, v78
	v_sub_f16_e32 v46, v83, v84
	v_add_f16_e32 v35, v35, v83
	v_fma_f16 v83, v46, s5, v45
	v_fma_f16 v45, v46, s4, v45
	v_add_f16_e32 v46, v85, v86
	v_pack_b32_f16 v37, v87, v37
	v_add_f16_e32 v35, v35, v84
	v_fma_f16 v46, v46, -0.5, v36
	v_lshrrev_b32_e32 v78, 16, v36
	v_sub_f16_e32 v84, v47, v82
	s_barrier
	ds_write_b32 v55, v37 offset:400
	v_mov_b32_e32 v37, 0x96
	v_fma_f16 v95, v84, s4, v46
	v_fma_f16 v46, v84, s5, v46
	v_add_f16_e32 v84, v78, v47
	v_add_f16_e32 v47, v47, v82
	v_cndmask_b32_e32 v37, 0, v37, vcc
	v_fma_f16 v47, v47, -0.5, v78
	v_sub_f16_e32 v78, v85, v86
	v_add_u32_e32 v31, v31, v37
	v_add_f16_e32 v84, v84, v82
	v_fma_f16 v82, v78, s5, v47
	v_fma_f16 v47, v78, s4, v47
	v_pack_b32_f16 v38, v38, v89
	v_pack_b32_f16 v53, v90, v53
	v_lshl_add_u32 v78, v31, 2, v67
	v_pack_b32_f16 v31, v42, v92
	v_pack_b32_f16 v37, v88, v68
	ds_write2_b32 v55, v38, v53 offset1:50
	ds_write2_b32 v78, v31, v37 offset1:50
	v_pack_b32_f16 v31, v91, v39
	ds_write_b32 v78, v31 offset:400
	v_pack_b32_f16 v31, v34, v93
	v_pack_b32_f16 v34, v79, v80
	ds_write2_b32 v55, v31, v34 offset0:160 offset1:210
	v_pack_b32_f16 v31, v54, v43
	ds_write_b32 v55, v31 offset:1040
	v_mul_u32_u24_e32 v31, 0x96, v40
	v_add_u32_sdwa v31, v31, v50 dst_sel:DWORD dst_unused:UNUSED_PAD src0_sel:DWORD src1_sel:BYTE_0
	v_add_f16_e32 v36, v36, v85
	v_lshl_add_u32 v79, v31, 2, v67
	v_pack_b32_f16 v31, v35, v81
	v_pack_b32_f16 v34, v94, v83
	v_add_f16_e32 v36, v36, v86
	ds_write2_b32 v79, v31, v34 offset1:50
	v_pack_b32_f16 v31, v44, v45
	v_lshl_add_u32 v80, v52, 2, v67
	ds_write_b32 v79, v31 offset:400
	v_pack_b32_f16 v31, v36, v84
	v_pack_b32_f16 v34, v95, v82
	v_add_u32_e32 v35, 0x400, v80
	ds_write2_b32 v35, v31, v34 offset0:44 offset1:94
	v_pack_b32_f16 v31, v46, v47
	v_lshlrev_b32_e32 v34, 3, v32
	ds_write_b32 v80, v31 offset:1600
	s_waitcnt lgkmcnt(0)
	s_barrier
	global_load_dwordx2 v[31:32], v34, s[2:3] offset:560
	global_load_dwordx2 v[39:40], v48, s[2:3] offset:560
	global_load_dwordx2 v[37:38], v33, s[2:3] offset:560
	global_load_dwordx2 v[35:36], v19, s[2:3] offset:560
	v_lshlrev_b32_e32 v19, 3, v51
	global_load_dwordx2 v[33:34], v19, s[2:3] offset:560
	ds_read2_b32 v[43:44], v55 offset0:120 offset1:150
	ds_read2_b32 v[45:46], v49 offset0:44 offset1:74
	ds_read2_b32 v[47:48], v55 offset0:180 offset1:210
	ds_read2_b32 v[50:51], v55 offset0:60 offset1:90
	ds_read2_b32 v[52:53], v49 offset0:104 offset1:134
	ds_read2_b32 v[81:82], v41 offset0:112 offset1:142
	ds_read_b32 v85, v55 offset:1680
	s_waitcnt lgkmcnt(5)
	v_lshrrev_b32_e32 v54, 16, v45
	v_lshrrev_b32_e32 v83, 16, v46
	s_waitcnt lgkmcnt(2)
	v_lshrrev_b32_e32 v42, 16, v53
	s_waitcnt lgkmcnt(1)
	v_lshrrev_b32_e32 v41, 16, v81
	v_lshrrev_b32_e32 v68, 16, v47
	;; [unrolled: 1-line block ×5, first 2 shown]
	s_waitcnt vmcnt(4)
	v_mul_f16_sdwa v87, v41, v31 dst_sel:DWORD dst_unused:UNUSED_PAD src0_sel:DWORD src1_sel:WORD_1
	v_fma_f16 v87, v81, v31, -v87
	v_mul_f16_sdwa v81, v81, v31 dst_sel:DWORD dst_unused:UNUSED_PAD src0_sel:DWORD src1_sel:WORD_1
	v_fma_f16 v81, v41, v31, v81
	v_mul_f16_sdwa v41, v42, v32 dst_sel:DWORD dst_unused:UNUSED_PAD src0_sel:DWORD src1_sel:WORD_1
	v_fma_f16 v88, v53, v32, -v41
	v_mul_f16_sdwa v41, v53, v32 dst_sel:DWORD dst_unused:UNUSED_PAD src0_sel:DWORD src1_sel:WORD_1
	v_fma_f16 v53, v42, v32, v41
	v_add_f16_e32 v41, v87, v88
	v_fma_f16 v42, v41, -0.5, v51
	v_sub_f16_e32 v89, v81, v53
	v_fma_f16 v41, v89, s4, v42
	v_fma_f16 v42, v89, s5, v42
	s_waitcnt vmcnt(3)
	v_mul_f16_sdwa v89, v54, v40 dst_sel:DWORD dst_unused:UNUSED_PAD src0_sel:DWORD src1_sel:WORD_1
	v_fma_f16 v89, v45, v40, -v89
	v_mul_f16_sdwa v45, v45, v40 dst_sel:DWORD dst_unused:UNUSED_PAD src0_sel:DWORD src1_sel:WORD_1
	v_fma_f16 v54, v54, v40, v45
	s_waitcnt vmcnt(2)
	v_mul_f16_sdwa v45, v83, v38 dst_sel:DWORD dst_unused:UNUSED_PAD src0_sel:DWORD src1_sel:WORD_1
	v_fma_f16 v90, v46, v38, -v45
	v_mul_f16_sdwa v45, v46, v38 dst_sel:DWORD dst_unused:UNUSED_PAD src0_sel:DWORD src1_sel:WORD_1
	v_mul_f16_sdwa v46, v47, v37 dst_sel:DWORD dst_unused:UNUSED_PAD src0_sel:DWORD src1_sel:WORD_1
	v_fma_f16 v46, v68, v37, v46
	v_mul_f16_sdwa v68, v68, v37 dst_sel:DWORD dst_unused:UNUSED_PAD src0_sel:DWORD src1_sel:WORD_1
	v_fma_f16 v47, v47, v37, -v68
	v_fma_f16 v68, v83, v38, v45
	s_waitcnt vmcnt(1)
	v_mul_f16_sdwa v45, v84, v35 dst_sel:DWORD dst_unused:UNUSED_PAD src0_sel:DWORD src1_sel:WORD_1
	v_fma_f16 v83, v48, v35, -v45
	v_mul_f16_sdwa v45, v48, v35 dst_sel:DWORD dst_unused:UNUSED_PAD src0_sel:DWORD src1_sel:WORD_1
	v_fma_f16 v84, v84, v35, v45
	v_mul_f16_sdwa v45, v86, v36 dst_sel:DWORD dst_unused:UNUSED_PAD src0_sel:DWORD src1_sel:WORD_1
	v_lshrrev_b32_e32 v48, 16, v82
	v_fma_f16 v91, v52, v36, -v45
	v_mul_f16_sdwa v45, v52, v36 dst_sel:DWORD dst_unused:UNUSED_PAD src0_sel:DWORD src1_sel:WORD_1
	v_fma_f16 v86, v86, v36, v45
	s_waitcnt vmcnt(0)
	v_mul_f16_sdwa v45, v48, v33 dst_sel:DWORD dst_unused:UNUSED_PAD src0_sel:DWORD src1_sel:WORD_1
	v_fma_f16 v92, v82, v33, -v45
	v_mul_f16_sdwa v45, v82, v33 dst_sel:DWORD dst_unused:UNUSED_PAD src0_sel:DWORD src1_sel:WORD_1
	v_mul_f16_sdwa v82, v44, v39 dst_sel:DWORD dst_unused:UNUSED_PAD src0_sel:DWORD src1_sel:WORD_1
	v_fma_f16 v82, v19, v39, v82
	v_mul_f16_sdwa v19, v19, v39 dst_sel:DWORD dst_unused:UNUSED_PAD src0_sel:DWORD src1_sel:WORD_1
	v_fma_f16 v19, v44, v39, -v19
	v_fma_f16 v48, v48, v33, v45
	ds_read2_b32 v[44:45], v55 offset1:30
	s_waitcnt lgkmcnt(1)
	v_lshrrev_b32_e32 v52, 16, v85
	v_mul_f16_sdwa v93, v52, v34 dst_sel:DWORD dst_unused:UNUSED_PAD src0_sel:DWORD src1_sel:WORD_1
	v_fma_f16 v93, v85, v34, -v93
	v_mul_f16_sdwa v85, v85, v34 dst_sel:DWORD dst_unused:UNUSED_PAD src0_sel:DWORD src1_sel:WORD_1
	v_fma_f16 v52, v52, v34, v85
	v_add_f16_e32 v85, v19, v89
	s_waitcnt lgkmcnt(0)
	v_fma_f16 v85, v85, -0.5, v44
	v_sub_f16_e32 v94, v82, v54
	v_fma_f16 v95, v94, s4, v85
	v_fma_f16 v94, v94, s5, v85
	v_lshrrev_b32_e32 v85, 16, v44
	v_add_f16_e32 v96, v85, v82
	v_add_f16_e32 v96, v96, v54
	;; [unrolled: 1-line block ×3, first 2 shown]
	v_fma_f16 v54, v54, -0.5, v85
	v_add_f16_e32 v44, v44, v19
	v_sub_f16_e32 v19, v19, v89
	v_add_f16_e32 v97, v44, v89
	v_fma_f16 v89, v19, s5, v54
	v_fma_f16 v54, v19, s4, v54
	v_add_f16_e32 v19, v47, v90
	v_fma_f16 v19, v19, -0.5, v45
	v_lshrrev_b32_e32 v44, 16, v45
	v_sub_f16_e32 v82, v46, v68
	v_fma_f16 v98, v82, s4, v19
	v_fma_f16 v99, v82, s5, v19
	v_add_f16_e32 v19, v44, v46
	v_add_f16_e32 v100, v19, v68
	;; [unrolled: 1-line block ×3, first 2 shown]
	v_fma_f16 v19, v19, -0.5, v44
	v_sub_f16_e32 v44, v47, v90
	v_add_f16_e32 v45, v45, v47
	v_fma_f16 v46, v44, s5, v19
	v_fma_f16 v47, v44, s4, v19
	v_add_f16_e32 v19, v83, v91
	v_fma_f16 v19, v19, -0.5, v50
	v_sub_f16_e32 v44, v84, v86
	v_add_f16_e32 v45, v45, v90
	v_fma_f16 v90, v44, s4, v19
	v_fma_f16 v101, v44, s5, v19
	v_lshrrev_b32_e32 v19, 16, v50
	v_add_f16_e32 v44, v19, v84
	v_add_f16_e32 v102, v44, v86
	;; [unrolled: 1-line block ×3, first 2 shown]
	v_fma_f16 v19, v44, -0.5, v19
	v_add_f16_e32 v44, v50, v83
	v_add_f16_e32 v50, v44, v91
	v_sub_f16_e32 v44, v83, v91
	v_fma_f16 v91, v44, s5, v19
	v_fma_f16 v103, v44, s4, v19
	v_lshrrev_b32_e32 v19, 16, v51
	v_add_f16_e32 v44, v51, v87
	v_add_f16_e32 v51, v19, v81
	;; [unrolled: 1-line block ×4, first 2 shown]
	v_fma_f16 v19, v53, -0.5, v19
	v_add_f16_e32 v53, v44, v88
	v_sub_f16_e32 v44, v87, v88
	v_fma_f16 v83, v44, s5, v19
	v_fma_f16 v82, v44, s4, v19
	v_add_f16_e32 v19, v92, v93
	v_fma_f16 v44, v19, -0.5, v43
	v_lshrrev_b32_e32 v68, 16, v43
	v_sub_f16_e32 v81, v48, v52
	v_fma_f16 v19, v81, s5, v44
	v_fma_f16 v44, v81, s4, v44
	v_add_f16_e32 v81, v68, v48
	v_add_f16_e32 v48, v48, v52
	;; [unrolled: 1-line block ×3, first 2 shown]
	v_fma_f16 v48, v48, -0.5, v68
	v_sub_f16_e32 v52, v92, v93
	v_fma_f16 v86, v52, s5, v48
	v_fma_f16 v85, v52, s4, v48
	v_pack_b32_f16 v52, v95, v89
	v_lshl_add_u32 v68, v65, 2, v67
	v_pack_b32_f16 v81, v45, v100
	v_pack_b32_f16 v45, v98, v46
	;; [unrolled: 1-line block ×3, first 2 shown]
	ds_write2_b32 v68, v52, v45 offset0:150 offset1:180
	v_pack_b32_f16 v46, v99, v47
	v_add_u32_e32 v45, 0x400, v68
	ds_write2_b32 v45, v54, v46 offset0:44 offset1:74
	v_pack_b32_f16 v46, v50, v102
	ds_write2_b32 v68, v81, v46 offset0:30 offset1:60
	v_pack_b32_f16 v46, v90, v91
	ds_write_b32 v68, v46 offset:840
	v_pack_b32_f16 v46, v101, v103
	v_pack_b32_f16 v48, v97, v96
	ds_write_b32 v68, v46 offset:1440
	v_pack_b32_f16 v46, v53, v51
	v_add_f16_e32 v43, v43, v92
	ds_write2_b32 v55, v48, v46 offset1:90
	v_pack_b32_f16 v46, v41, v83
	v_add_f16_e32 v43, v43, v93
	ds_write_b32 v68, v46 offset:960
	v_pack_b32_f16 v46, v42, v82
	ds_write_b32 v68, v46 offset:1560
	v_pack_b32_f16 v46, v43, v84
	;; [unrolled: 2-line block ×3, first 2 shown]
	v_pack_b32_f16 v47, v19, v85
	ds_write2_b32 v49, v46, v47 offset0:14 offset1:164
	s_waitcnt lgkmcnt(0)
	s_barrier
	global_load_dword v50, v[12:13], off offset:1800
	s_add_u32 s4, s14, 0x708
	s_addc_u32 s5, s15, 0
	v_lshlrev_b32_e32 v46, 2, v65
	global_load_dword v52, v46, s[4:5] offset:180
	global_load_dword v53, v46, s[4:5] offset:360
	;; [unrolled: 1-line block ×9, first 2 shown]
	ds_read2_b32 v[47:48], v55 offset1:45
	s_waitcnt lgkmcnt(0)
	v_lshrrev_b32_e32 v51, 16, v47
	s_waitcnt vmcnt(9)
	v_mul_f16_sdwa v92, v51, v50 dst_sel:DWORD dst_unused:UNUSED_PAD src0_sel:DWORD src1_sel:WORD_1
	v_fma_f16 v92, v47, v50, -v92
	v_mul_f16_sdwa v47, v47, v50 dst_sel:DWORD dst_unused:UNUSED_PAD src0_sel:DWORD src1_sel:WORD_1
	v_fma_f16 v47, v51, v50, v47
	v_pack_b32_f16 v47, v92, v47
	v_lshrrev_b32_e32 v92, 16, v48
	s_waitcnt vmcnt(8)
	v_mul_f16_sdwa v50, v92, v52 dst_sel:DWORD dst_unused:UNUSED_PAD src0_sel:DWORD src1_sel:WORD_1
	v_fma_f16 v93, v48, v52, -v50
	ds_read2_b32 v[50:51], v55 offset0:90 offset1:135
	v_mul_f16_sdwa v48, v48, v52 dst_sel:DWORD dst_unused:UNUSED_PAD src0_sel:DWORD src1_sel:WORD_1
	v_fma_f16 v48, v92, v52, v48
	v_pack_b32_f16 v48, v93, v48
	ds_write2_b32 v55, v47, v48 offset1:45
	s_waitcnt lgkmcnt(1)
	v_lshrrev_b32_e32 v47, 16, v50
	s_waitcnt vmcnt(7)
	v_mul_f16_sdwa v48, v47, v53 dst_sel:DWORD dst_unused:UNUSED_PAD src0_sel:DWORD src1_sel:WORD_1
	v_fma_f16 v48, v50, v53, -v48
	v_mul_f16_sdwa v50, v50, v53 dst_sel:DWORD dst_unused:UNUSED_PAD src0_sel:DWORD src1_sel:WORD_1
	v_fma_f16 v47, v47, v53, v50
	v_lshrrev_b32_e32 v52, 16, v51
	v_pack_b32_f16 v50, v48, v47
	s_waitcnt vmcnt(6)
	v_mul_f16_sdwa v47, v52, v54 dst_sel:DWORD dst_unused:UNUSED_PAD src0_sel:DWORD src1_sel:WORD_1
	v_fma_f16 v53, v51, v54, -v47
	ds_read2_b32 v[47:48], v55 offset0:180 offset1:225
	v_mul_f16_sdwa v51, v51, v54 dst_sel:DWORD dst_unused:UNUSED_PAD src0_sel:DWORD src1_sel:WORD_1
	v_fma_f16 v51, v52, v54, v51
	v_pack_b32_f16 v51, v53, v51
	ds_write2_b32 v55, v50, v51 offset0:90 offset1:135
	s_waitcnt lgkmcnt(1)
	v_lshrrev_b32_e32 v50, 16, v47
	s_waitcnt vmcnt(5)
	v_mul_f16_sdwa v51, v50, v81 dst_sel:DWORD dst_unused:UNUSED_PAD src0_sel:DWORD src1_sel:WORD_1
	v_fma_f16 v51, v47, v81, -v51
	v_mul_f16_sdwa v47, v47, v81 dst_sel:DWORD dst_unused:UNUSED_PAD src0_sel:DWORD src1_sel:WORD_1
	v_lshrrev_b32_e32 v52, 16, v48
	v_fma_f16 v47, v50, v81, v47
	s_waitcnt vmcnt(4)
	v_mul_f16_sdwa v50, v52, v87 dst_sel:DWORD dst_unused:UNUSED_PAD src0_sel:DWORD src1_sel:WORD_1
	v_pack_b32_f16 v47, v51, v47
	v_fma_f16 v53, v48, v87, -v50
	ds_read2_b32 v[50:51], v49 offset0:14 offset1:59
	v_mul_f16_sdwa v48, v48, v87 dst_sel:DWORD dst_unused:UNUSED_PAD src0_sel:DWORD src1_sel:WORD_1
	v_fma_f16 v48, v52, v87, v48
	v_pack_b32_f16 v48, v53, v48
	ds_write2_b32 v55, v47, v48 offset0:180 offset1:225
	s_waitcnt lgkmcnt(1)
	v_lshrrev_b32_e32 v47, 16, v50
	s_waitcnt vmcnt(3)
	v_mul_f16_sdwa v48, v47, v88 dst_sel:DWORD dst_unused:UNUSED_PAD src0_sel:DWORD src1_sel:WORD_1
	v_fma_f16 v48, v50, v88, -v48
	v_mul_f16_sdwa v50, v50, v88 dst_sel:DWORD dst_unused:UNUSED_PAD src0_sel:DWORD src1_sel:WORD_1
	v_fma_f16 v47, v47, v88, v50
	v_lshrrev_b32_e32 v52, 16, v51
	v_pack_b32_f16 v50, v48, v47
	s_waitcnt vmcnt(2)
	v_mul_f16_sdwa v47, v52, v89 dst_sel:DWORD dst_unused:UNUSED_PAD src0_sel:DWORD src1_sel:WORD_1
	v_fma_f16 v53, v51, v89, -v47
	ds_read2_b32 v[47:48], v49 offset0:104 offset1:149
	v_mul_f16_sdwa v51, v51, v89 dst_sel:DWORD dst_unused:UNUSED_PAD src0_sel:DWORD src1_sel:WORD_1
	v_fma_f16 v51, v52, v89, v51
	v_pack_b32_f16 v51, v53, v51
	ds_write2_b32 v49, v50, v51 offset0:14 offset1:59
	s_waitcnt lgkmcnt(1)
	v_lshrrev_b32_e32 v50, 16, v47
	s_waitcnt vmcnt(1)
	v_mul_f16_sdwa v51, v50, v90 dst_sel:DWORD dst_unused:UNUSED_PAD src0_sel:DWORD src1_sel:WORD_1
	v_fma_f16 v51, v47, v90, -v51
	v_mul_f16_sdwa v47, v47, v90 dst_sel:DWORD dst_unused:UNUSED_PAD src0_sel:DWORD src1_sel:WORD_1
	v_fma_f16 v47, v50, v90, v47
	v_lshrrev_b32_e32 v50, 16, v48
	v_pack_b32_f16 v47, v51, v47
	s_waitcnt vmcnt(0)
	v_mul_f16_sdwa v51, v50, v91 dst_sel:DWORD dst_unused:UNUSED_PAD src0_sel:DWORD src1_sel:WORD_1
	v_fma_f16 v51, v48, v91, -v51
	v_mul_f16_sdwa v48, v48, v91 dst_sel:DWORD dst_unused:UNUSED_PAD src0_sel:DWORD src1_sel:WORD_1
	v_fma_f16 v48, v50, v91, v48
	v_pack_b32_f16 v48, v51, v48
	ds_write2_b32 v49, v47, v48 offset0:104 offset1:149
	s_and_saveexec_b64 s[2:3], s[0:1]
	s_cbranch_execz .LBB0_9
; %bb.8:
	v_add_co_u32_e32 v46, vcc, s4, v46
	v_mov_b32_e32 v47, s5
	v_addc_co_u32_e32 v47, vcc, 0, v47, vcc
	global_load_dword v52, v[46:47], off offset:120
	ds_read2_b32 v[50:51], v68 offset0:30 offset1:75
	s_waitcnt lgkmcnt(0)
	v_lshrrev_b32_e32 v48, 16, v50
	s_waitcnt vmcnt(0)
	v_mul_f16_sdwa v53, v48, v52 dst_sel:DWORD dst_unused:UNUSED_PAD src0_sel:DWORD src1_sel:WORD_1
	v_fma_f16 v53, v50, v52, -v53
	v_mul_f16_sdwa v50, v50, v52 dst_sel:DWORD dst_unused:UNUSED_PAD src0_sel:DWORD src1_sel:WORD_1
	v_fma_f16 v48, v48, v52, v50
	global_load_dword v52, v[46:47], off offset:300
	v_lshrrev_b32_e32 v50, 16, v51
	v_pack_b32_f16 v48, v53, v48
	s_waitcnt vmcnt(0)
	v_mul_f16_sdwa v53, v50, v52 dst_sel:DWORD dst_unused:UNUSED_PAD src0_sel:DWORD src1_sel:WORD_1
	v_fma_f16 v53, v51, v52, -v53
	v_mul_f16_sdwa v51, v51, v52 dst_sel:DWORD dst_unused:UNUSED_PAD src0_sel:DWORD src1_sel:WORD_1
	v_fma_f16 v50, v50, v52, v51
	global_load_dword v52, v[46:47], off offset:480
	v_pack_b32_f16 v50, v53, v50
	ds_write2_b32 v68, v48, v50 offset0:30 offset1:75
	ds_read2_b32 v[50:51], v68 offset0:120 offset1:165
	s_waitcnt lgkmcnt(0)
	v_lshrrev_b32_e32 v48, 16, v50
	s_waitcnt vmcnt(0)
	v_mul_f16_sdwa v53, v48, v52 dst_sel:DWORD dst_unused:UNUSED_PAD src0_sel:DWORD src1_sel:WORD_1
	v_fma_f16 v53, v50, v52, -v53
	v_mul_f16_sdwa v50, v50, v52 dst_sel:DWORD dst_unused:UNUSED_PAD src0_sel:DWORD src1_sel:WORD_1
	v_fma_f16 v48, v48, v52, v50
	global_load_dword v52, v[46:47], off offset:660
	v_lshrrev_b32_e32 v50, 16, v51
	v_pack_b32_f16 v48, v53, v48
	s_waitcnt vmcnt(0)
	v_mul_f16_sdwa v53, v50, v52 dst_sel:DWORD dst_unused:UNUSED_PAD src0_sel:DWORD src1_sel:WORD_1
	v_fma_f16 v53, v51, v52, -v53
	v_mul_f16_sdwa v51, v51, v52 dst_sel:DWORD dst_unused:UNUSED_PAD src0_sel:DWORD src1_sel:WORD_1
	v_fma_f16 v50, v50, v52, v51
	global_load_dword v52, v[46:47], off offset:840
	v_pack_b32_f16 v50, v53, v50
	ds_write2_b32 v68, v48, v50 offset0:120 offset1:165
	ds_read2_b32 v[50:51], v68 offset0:210 offset1:255
	s_waitcnt lgkmcnt(0)
	v_lshrrev_b32_e32 v48, 16, v50
	s_waitcnt vmcnt(0)
	v_mul_f16_sdwa v53, v48, v52 dst_sel:DWORD dst_unused:UNUSED_PAD src0_sel:DWORD src1_sel:WORD_1
	v_fma_f16 v53, v50, v52, -v53
	v_mul_f16_sdwa v50, v50, v52 dst_sel:DWORD dst_unused:UNUSED_PAD src0_sel:DWORD src1_sel:WORD_1
	v_fma_f16 v48, v48, v52, v50
	global_load_dword v52, v[46:47], off offset:1020
	v_lshrrev_b32_e32 v50, 16, v51
	v_pack_b32_f16 v48, v53, v48
	s_waitcnt vmcnt(0)
	v_mul_f16_sdwa v53, v50, v52 dst_sel:DWORD dst_unused:UNUSED_PAD src0_sel:DWORD src1_sel:WORD_1
	v_fma_f16 v53, v51, v52, -v53
	v_mul_f16_sdwa v51, v51, v52 dst_sel:DWORD dst_unused:UNUSED_PAD src0_sel:DWORD src1_sel:WORD_1
	v_fma_f16 v50, v50, v52, v51
	global_load_dword v52, v[46:47], off offset:1200
	v_pack_b32_f16 v50, v53, v50
	ds_write2_b32 v68, v48, v50 offset0:210 offset1:255
	ds_read2_b32 v[50:51], v45 offset0:44 offset1:89
	s_waitcnt lgkmcnt(0)
	v_lshrrev_b32_e32 v48, 16, v50
	s_waitcnt vmcnt(0)
	v_mul_f16_sdwa v53, v48, v52 dst_sel:DWORD dst_unused:UNUSED_PAD src0_sel:DWORD src1_sel:WORD_1
	v_fma_f16 v53, v50, v52, -v53
	v_mul_f16_sdwa v50, v50, v52 dst_sel:DWORD dst_unused:UNUSED_PAD src0_sel:DWORD src1_sel:WORD_1
	v_fma_f16 v48, v48, v52, v50
	global_load_dword v52, v[46:47], off offset:1380
	v_lshrrev_b32_e32 v50, 16, v51
	v_pack_b32_f16 v48, v53, v48
	s_waitcnt vmcnt(0)
	v_mul_f16_sdwa v53, v50, v52 dst_sel:DWORD dst_unused:UNUSED_PAD src0_sel:DWORD src1_sel:WORD_1
	v_fma_f16 v53, v51, v52, -v53
	v_mul_f16_sdwa v51, v51, v52 dst_sel:DWORD dst_unused:UNUSED_PAD src0_sel:DWORD src1_sel:WORD_1
	v_fma_f16 v50, v50, v52, v51
	global_load_dword v52, v[46:47], off offset:1560
	v_pack_b32_f16 v50, v53, v50
	global_load_dword v46, v[46:47], off offset:1740
	ds_write2_b32 v45, v48, v50 offset0:44 offset1:89
	ds_read2_b32 v[50:51], v45 offset0:134 offset1:179
	s_waitcnt lgkmcnt(0)
	v_lshrrev_b32_e32 v48, 16, v50
	s_waitcnt vmcnt(1)
	v_mul_f16_sdwa v53, v48, v52 dst_sel:DWORD dst_unused:UNUSED_PAD src0_sel:DWORD src1_sel:WORD_1
	v_fma_f16 v53, v50, v52, -v53
	v_mul_f16_sdwa v50, v50, v52 dst_sel:DWORD dst_unused:UNUSED_PAD src0_sel:DWORD src1_sel:WORD_1
	v_fma_f16 v48, v48, v52, v50
	v_lshrrev_b32_e32 v50, 16, v51
	s_waitcnt vmcnt(0)
	v_mul_f16_sdwa v47, v50, v46 dst_sel:DWORD dst_unused:UNUSED_PAD src0_sel:DWORD src1_sel:WORD_1
	v_fma_f16 v47, v51, v46, -v47
	v_mul_f16_sdwa v51, v51, v46 dst_sel:DWORD dst_unused:UNUSED_PAD src0_sel:DWORD src1_sel:WORD_1
	v_fma_f16 v46, v50, v46, v51
	v_pack_b32_f16 v48, v53, v48
	v_pack_b32_f16 v46, v47, v46
	ds_write2_b32 v45, v48, v46 offset0:134 offset1:179
.LBB0_9:
	s_or_b64 exec, exec, s[2:3]
	s_waitcnt lgkmcnt(0)
	s_barrier
	ds_read2_b32 v[53:54], v55 offset1:45
	ds_read2_b32 v[51:52], v55 offset0:90 offset1:135
	ds_read2_b32 v[45:46], v55 offset0:180 offset1:225
	;; [unrolled: 1-line block ×4, first 2 shown]
	s_and_saveexec_b64 s[2:3], s[0:1]
	s_cbranch_execz .LBB0_11
; %bb.10:
	v_add_u32_e32 v17, 0x400, v68
	ds_read2_b32 v[41:42], v68 offset0:30 offset1:75
	ds_read2_b32 v[43:44], v68 offset0:120 offset1:165
	;; [unrolled: 1-line block ×5, first 2 shown]
	s_waitcnt lgkmcnt(4)
	v_lshrrev_b32_e32 v83, 16, v41
	v_lshrrev_b32_e32 v82, 16, v42
	s_waitcnt lgkmcnt(3)
	v_lshrrev_b32_e32 v84, 16, v43
	v_lshrrev_b32_e32 v86, 16, v44
	s_waitcnt lgkmcnt(2)
	v_lshrrev_b32_e32 v85, 16, v19
	s_waitcnt lgkmcnt(1)
	v_lshrrev_b32_e32 v70, 16, v15
	v_lshrrev_b32_e32 v72, 16, v16
	s_waitcnt lgkmcnt(0)
	v_lshrrev_b32_e32 v71, 16, v17
	v_lshrrev_b32_e32 v73, 16, v18
.LBB0_11:
	s_or_b64 exec, exec, s[2:3]
	s_waitcnt lgkmcnt(1)
	v_add_f16_e32 v88, v45, v47
	v_fma_f16 v88, v88, -0.5, v53
	s_waitcnt lgkmcnt(0)
	v_sub_f16_sdwa v89, v51, v49 dst_sel:DWORD dst_unused:UNUSED_PAD src0_sel:WORD_1 src1_sel:WORD_1
	s_mov_b32 s5, 0xbb9c
	s_movk_i32 s13, 0x3b9c
	v_fma_f16 v90, v89, s5, v88
	v_sub_f16_sdwa v91, v45, v47 dst_sel:DWORD dst_unused:UNUSED_PAD src0_sel:WORD_1 src1_sel:WORD_1
	s_mov_b32 s4, 0xb8b4
	v_sub_f16_e32 v92, v49, v47
	v_sub_f16_e32 v93, v51, v45
	v_fma_f16 v88, v89, s13, v88
	s_movk_i32 s14, 0x38b4
	v_fma_f16 v90, v91, s4, v90
	v_add_f16_e32 v92, v93, v92
	s_movk_i32 s12, 0x34f2
	v_fma_f16 v88, v91, s14, v88
	v_fma_f16 v90, v92, s12, v90
	;; [unrolled: 1-line block ×3, first 2 shown]
	v_add_f16_e32 v92, v51, v49
	v_fma_f16 v92, v92, -0.5, v53
	v_fma_f16 v93, v91, s13, v92
	v_fma_f16 v91, v91, s5, v92
	v_pk_add_f16 v87, v53, v51
	v_fma_f16 v93, v89, s4, v93
	v_sub_f16_e32 v94, v47, v49
	v_sub_f16_e32 v95, v45, v51
	v_fma_f16 v89, v89, s14, v91
	v_add_f16_sdwa v91, v45, v47 dst_sel:DWORD dst_unused:UNUSED_PAD src0_sel:WORD_1 src1_sel:WORD_1
	v_lshrrev_b32_e32 v53, 16, v53
	v_add_f16_e32 v94, v95, v94
	v_fma_f16 v91, v91, -0.5, v53
	v_sub_f16_e32 v92, v51, v49
	v_fma_f16 v93, v94, s12, v93
	v_fma_f16 v89, v94, s12, v89
	;; [unrolled: 1-line block ×3, first 2 shown]
	v_sub_f16_e32 v95, v45, v47
	v_sub_f16_sdwa v96, v51, v45 dst_sel:DWORD dst_unused:UNUSED_PAD src0_sel:WORD_1 src1_sel:WORD_1
	v_sub_f16_sdwa v97, v49, v47 dst_sel:DWORD dst_unused:UNUSED_PAD src0_sel:WORD_1 src1_sel:WORD_1
	v_fma_f16 v91, v92, s5, v91
	v_fma_f16 v94, v95, s14, v94
	v_add_f16_e32 v96, v96, v97
	v_fma_f16 v91, v95, s4, v91
	v_fma_f16 v94, v96, s12, v94
	;; [unrolled: 1-line block ×3, first 2 shown]
	v_add_f16_sdwa v96, v51, v49 dst_sel:DWORD dst_unused:UNUSED_PAD src0_sel:WORD_1 src1_sel:WORD_1
	v_fma_f16 v53, v96, -0.5, v53
	v_fma_f16 v96, v95, s5, v53
	v_fma_f16 v53, v95, s13, v53
	;; [unrolled: 1-line block ×4, first 2 shown]
	v_add_f16_e32 v92, v46, v48
	v_sub_f16_sdwa v51, v45, v51 dst_sel:DWORD dst_unused:UNUSED_PAD src0_sel:WORD_1 src1_sel:WORD_1
	v_sub_f16_sdwa v97, v47, v49 dst_sel:DWORD dst_unused:UNUSED_PAD src0_sel:WORD_1 src1_sel:WORD_1
	v_fma_f16 v92, v92, -0.5, v54
	v_sub_f16_sdwa v95, v52, v50 dst_sel:DWORD dst_unused:UNUSED_PAD src0_sel:WORD_1 src1_sel:WORD_1
	v_add_f16_e32 v51, v51, v97
	v_fma_f16 v97, v95, s5, v92
	v_sub_f16_sdwa v98, v46, v48 dst_sel:DWORD dst_unused:UNUSED_PAD src0_sel:WORD_1 src1_sel:WORD_1
	v_sub_f16_e32 v99, v50, v48
	v_sub_f16_e32 v100, v52, v46
	v_fma_f16 v92, v95, s13, v92
	v_fma_f16 v97, v98, s4, v97
	v_add_f16_e32 v99, v100, v99
	v_fma_f16 v92, v98, s14, v92
	v_fma_f16 v97, v99, s12, v97
	;; [unrolled: 1-line block ×3, first 2 shown]
	v_add_f16_e32 v99, v52, v50
	v_fma_f16 v99, v99, -0.5, v54
	v_fma_f16 v100, v98, s13, v99
	v_fma_f16 v98, v98, s5, v99
	;; [unrolled: 1-line block ×4, first 2 shown]
	v_pk_add_f16 v53, v54, v52
	v_fma_f16 v100, v95, s4, v100
	v_sub_f16_e32 v101, v48, v50
	v_sub_f16_e32 v102, v46, v52
	v_fma_f16 v95, v95, s14, v98
	v_add_f16_sdwa v98, v46, v48 dst_sel:DWORD dst_unused:UNUSED_PAD src0_sel:WORD_1 src1_sel:WORD_1
	v_lshrrev_b32_e32 v54, 16, v54
	v_add_f16_e32 v101, v102, v101
	v_fma_f16 v98, v98, -0.5, v54
	v_sub_f16_e32 v99, v52, v50
	v_fma_f16 v100, v101, s12, v100
	v_fma_f16 v95, v101, s12, v95
	;; [unrolled: 1-line block ×3, first 2 shown]
	v_sub_f16_e32 v102, v46, v48
	v_sub_f16_sdwa v103, v52, v46 dst_sel:DWORD dst_unused:UNUSED_PAD src0_sel:WORD_1 src1_sel:WORD_1
	v_sub_f16_sdwa v104, v50, v48 dst_sel:DWORD dst_unused:UNUSED_PAD src0_sel:WORD_1 src1_sel:WORD_1
	v_fma_f16 v98, v99, s5, v98
	v_fma_f16 v101, v102, s14, v101
	v_add_f16_e32 v103, v103, v104
	v_fma_f16 v98, v102, s4, v98
	v_fma_f16 v101, v103, s12, v101
	;; [unrolled: 1-line block ×3, first 2 shown]
	v_add_f16_sdwa v103, v52, v50 dst_sel:DWORD dst_unused:UNUSED_PAD src0_sel:WORD_1 src1_sel:WORD_1
	v_fma_f16 v54, v103, -0.5, v54
	v_fma_f16 v103, v102, s5, v54
	v_sub_f16_sdwa v52, v46, v52 dst_sel:DWORD dst_unused:UNUSED_PAD src0_sel:WORD_1 src1_sel:WORD_1
	v_sub_f16_sdwa v104, v48, v50 dst_sel:DWORD dst_unused:UNUSED_PAD src0_sel:WORD_1 src1_sel:WORD_1
	v_fma_f16 v54, v102, s13, v54
	v_fma_f16 v103, v99, s14, v103
	v_add_f16_e32 v52, v52, v104
	v_fma_f16 v54, v99, s4, v54
	v_pk_add_f16 v45, v87, v45
	v_fma_f16 v103, v52, s12, v103
	v_fma_f16 v52, v52, s12, v54
	v_mul_f16_e32 v54, 0xb8b4, v101
	s_movk_i32 s15, 0x3a79
	v_pk_add_f16 v45, v45, v47
	v_fma_f16 v54, v97, s15, v54
	v_mul_f16_e32 v102, 0xbb9c, v103
	v_mul_f16_e32 v105, 0xbb9c, v52
	s_mov_b32 s16, 0xb4f2
	v_mul_f16_e32 v97, 0x38b4, v97
	v_mul_f16_e32 v103, 0x34f2, v103
	;; [unrolled: 1-line block ×3, first 2 shown]
	v_pk_add_f16 v49, v45, v49
	v_pk_add_f16 v45, v53, v46
	v_fma_f16 v102, v100, s12, v102
	v_fma_f16 v105, v95, s16, v105
	v_mul_f16_e32 v107, 0xb8b4, v98
	s_mov_b32 s17, 0xba79
	v_fma_f16 v97, v101, s15, v97
	v_fma_f16 v100, v100, s13, v103
	;; [unrolled: 1-line block ×3, first 2 shown]
	v_mul_f16_e32 v98, 0xba79, v98
	v_pk_add_f16 v45, v45, v48
	v_add_f16_e32 v99, v90, v54
	v_add_f16_e32 v104, v93, v102
	;; [unrolled: 1-line block ×3, first 2 shown]
	v_fma_f16 v107, v92, s17, v107
	v_add_f16_e32 v101, v94, v97
	v_add_f16_e32 v103, v96, v100
	;; [unrolled: 1-line block ×3, first 2 shown]
	v_fma_f16 v92, v92, s14, v98
	v_pk_add_f16 v50, v45, v50
	v_add_f16_e32 v108, v88, v107
	v_add_f16_e32 v98, v91, v92
	v_sub_f16_e32 v54, v90, v54
	v_sub_f16_e32 v90, v93, v102
	;; [unrolled: 1-line block ×4, first 2 shown]
	v_pk_add_f16 v45, v49, v50
	v_pack_b32_f16 v48, v106, v95
	v_pack_b32_f16 v47, v104, v103
	;; [unrolled: 1-line block ×3, first 2 shown]
	v_sub_f16_e32 v89, v89, v105
	v_sub_f16_e32 v88, v88, v107
	;; [unrolled: 1-line block ×4, first 2 shown]
	s_barrier
	ds_write2_b64 v75, v[45:46], v[47:48] offset1:1
	v_pk_add_f16 v46, v49, v50 neg_lo:[0,1] neg_hi:[0,1]
	v_pack_b32_f16 v48, v90, v94
	v_pack_b32_f16 v47, v54, v93
	;; [unrolled: 1-line block ×3, first 2 shown]
	v_add_u32_e32 v81, 0x1e0, v55
	ds_write2_b64 v75, v[45:46], v[47:48] offset0:2 offset1:3
	v_pack_b32_f16 v46, v88, v52
	v_pack_b32_f16 v45, v89, v51
	ds_write_b64 v75, v[45:46] offset:32
	s_and_saveexec_b64 s[2:3], s[0:1]
	s_cbranch_execz .LBB0_13
; %bb.12:
	v_sub_f16_e32 v93, v85, v84
	v_sub_f16_e32 v94, v70, v71
	;; [unrolled: 1-line block ×4, first 2 shown]
	v_add_f16_e32 v93, v93, v94
	v_add_f16_e32 v94, v84, v71
	;; [unrolled: 1-line block ×4, first 2 shown]
	v_sub_f16_e32 v49, v19, v15
	v_fma_f16 v94, v94, -0.5, v83
	v_sub_f16_e32 v96, v20, v44
	v_sub_f16_e32 v97, v16, v18
	v_fma_f16 v46, v46, -0.5, v83
	v_sub_f16_e32 v47, v43, v17
	v_sub_f16_e32 v50, v44, v20
	;; [unrolled: 1-line block ×3, first 2 shown]
	v_fma_f16 v95, v49, s13, v94
	v_add_f16_e32 v96, v96, v97
	v_add_f16_e32 v97, v44, v18
	v_fma_f16 v94, v49, s5, v94
	v_fma_f16 v48, v47, s5, v46
	v_add_f16_e32 v50, v50, v51
	v_add_f16_e32 v51, v20, v16
	v_sub_f16_sdwa v54, v20, v72 dst_sel:DWORD dst_unused:UNUSED_PAD src0_sel:WORD_1 src1_sel:DWORD
	v_fma_f16 v95, v47, s4, v95
	v_fma_f16 v97, v97, -0.5, v42
	v_fma_f16 v94, v47, s14, v94
	v_fma_f16 v46, v47, s13, v46
	;; [unrolled: 1-line block ×3, first 2 shown]
	v_fma_f16 v51, v51, -0.5, v42
	v_sub_f16_e32 v52, v86, v73
	v_fma_f16 v95, v93, s12, v95
	v_fma_f16 v98, v54, s5, v97
	;; [unrolled: 1-line block ×11, first 2 shown]
	v_add_f16_e32 v51, v83, v84
	v_add_f16_e32 v52, v82, v86
	;; [unrolled: 1-line block ×3, first 2 shown]
	v_add_f16_sdwa v52, v52, v20 dst_sel:DWORD dst_unused:UNUSED_PAD src0_sel:DWORD src1_sel:WORD_1
	v_sub_f16_sdwa v75, v86, v20 dst_sel:DWORD dst_unused:UNUSED_PAD src0_sel:DWORD src1_sel:WORD_1
	v_sub_f16_e32 v87, v73, v72
	v_sub_f16_sdwa v99, v20, v86 dst_sel:DWORD dst_unused:UNUSED_PAD src0_sel:WORD_1 src1_sel:DWORD
	v_sub_f16_e32 v100, v72, v73
	v_add_f16_e32 v51, v51, v70
	v_add_f16_e32 v52, v52, v72
	;; [unrolled: 1-line block ×3, first 2 shown]
	v_add_f16_sdwa v87, v20, v72 dst_sel:DWORD dst_unused:UNUSED_PAD src0_sel:WORD_1 src1_sel:DWORD
	v_add_f16_e32 v99, v99, v100
	v_add_f16_e32 v100, v86, v73
	;; [unrolled: 1-line block ×4, first 2 shown]
	v_sub_f16_e32 v72, v43, v19
	v_sub_f16_e32 v73, v17, v15
	;; [unrolled: 1-line block ×5, first 2 shown]
	v_add_f16_e32 v72, v72, v73
	v_add_f16_e32 v73, v19, v15
	;; [unrolled: 1-line block ×4, first 2 shown]
	v_fma_f16 v73, v73, -0.5, v41
	v_fma_f16 v84, v84, -0.5, v41
	v_add_f16_e32 v41, v41, v43
	v_fma_f16 v87, v87, -0.5, v82
	v_sub_f16_e32 v88, v44, v18
	v_sub_f16_e32 v90, v20, v16
	v_fma_f16 v100, v100, -0.5, v82
	v_add_f16_e32 v19, v41, v19
	v_fma_f16 v89, v88, s5, v87
	v_fma_f16 v98, v96, s12, v98
	;; [unrolled: 1-line block ×7, first 2 shown]
	v_sub_f16_e32 v70, v85, v70
	v_add_f16_e32 v15, v19, v15
	v_fma_f16 v89, v90, s4, v89
	v_fma_f16 v101, v88, s4, v101
	;; [unrolled: 1-line block ×7, first 2 shown]
	v_add_f16_e32 v15, v15, v17
	v_add_f16_e32 v17, v42, v44
	v_fma_f16 v89, v75, s12, v89
	v_fma_f16 v101, v99, s12, v101
	;; [unrolled: 1-line block ×3, first 2 shown]
	v_mul_f16_e32 v47, 0x38b4, v46
	v_fma_f16 v49, v75, s12, v49
	v_fma_f16 v75, v71, s13, v73
	;; [unrolled: 1-line block ×5, first 2 shown]
	v_add_f16_e32 v17, v17, v20
	v_fma_f16 v53, v54, s14, v53
	v_mul_f16_e32 v102, 0xb4f2, v101
	v_mul_f16_e32 v97, 0x34f2, v96
	v_fma_f16 v47, v49, s15, v47
	v_fma_f16 v75, v70, s14, v75
	;; [unrolled: 1-line block ×3, first 2 shown]
	v_mul_f16_e32 v86, 0xbb9c, v101
	v_fma_f16 v83, v83, s12, v84
	v_mul_f16_e32 v84, 0xbb9c, v96
	v_fma_f16 v70, v70, s4, v71
	v_mul_f16_e32 v49, 0xb8b4, v49
	v_add_f16_e32 v16, v17, v16
	v_fma_f16 v53, v50, s12, v53
	v_mul_f16_e32 v91, 0xba79, v89
	v_fma_f16 v102, v98, s13, v102
	v_fma_f16 v97, v94, s13, v97
	v_mul_f16_e32 v82, 0xb8b4, v89
	v_fma_f16 v86, v98, s16, v86
	v_fma_f16 v84, v94, s12, v84
	v_fma_f16 v70, v72, s12, v70
	v_fma_f16 v46, v46, s15, v49
	v_add_f16_e32 v16, v16, v18
	v_fma_f16 v91, v53, s14, v91
	v_sub_f16_e32 v50, v45, v47
	v_fma_f16 v75, v72, s12, v75
	v_fma_f16 v53, v53, s17, v82
	v_sub_f16_e32 v49, v70, v46
	v_add_f16_e32 v17, v95, v102
	v_add_f16_e32 v18, v93, v97
	;; [unrolled: 1-line block ×8, first 2 shown]
	v_sub_f16_e32 v92, v48, v91
	v_sub_f16_e32 v99, v93, v97
	v_sub_f16_e32 v54, v51, v52
	v_sub_f16_e32 v88, v83, v84
	v_sub_f16_e32 v19, v15, v16
	v_add_f16_e32 v20, v48, v91
	v_add_f16_e32 v43, v75, v53
	v_lshl_add_u32 v48, v69, 2, v67
	v_pack_b32_f16 v16, v44, v17
	v_pack_b32_f16 v15, v45, v18
	;; [unrolled: 1-line block ×4, first 2 shown]
	v_sub_f16_e32 v103, v95, v102
	v_sub_f16_e32 v82, v75, v53
	;; [unrolled: 1-line block ×3, first 2 shown]
	ds_write2_b64 v48, v[17:18], v[15:16] offset1:1
	v_pack_b32_f16 v16, v88, v99
	v_pack_b32_f16 v15, v49, v50
	;; [unrolled: 1-line block ×4, first 2 shown]
	ds_write2_b64 v48, v[17:18], v[15:16] offset0:2 offset1:3
	v_pack_b32_f16 v15, v87, v103
	v_pack_b32_f16 v16, v82, v92
	ds_write_b64 v48, v[15:16] offset:32
.LBB0_13:
	s_or_b64 exec, exec, s[2:3]
	s_waitcnt lgkmcnt(0)
	s_barrier
	ds_read2_b32 v[16:17], v55 offset1:30
	ds_read2_b32 v[18:19], v55 offset0:60 offset1:90
	ds_read2_b32 v[41:42], v55 offset0:180 offset1:210
	v_add_u32_e32 v52, 0x200, v55
	ds_read2_b32 v[43:44], v52 offset0:112 offset1:142
	v_add_u32_e32 v15, 0x400, v55
	s_waitcnt lgkmcnt(2)
	v_lshrrev_b32_e32 v51, 16, v19
	ds_read2_b32 v[45:46], v15 offset0:104 offset1:134
	v_mul_f16_sdwa v87, v8, v51 dst_sel:DWORD dst_unused:UNUSED_PAD src0_sel:WORD_1 src1_sel:DWORD
	s_waitcnt lgkmcnt(2)
	v_lshrrev_b32_e32 v53, 16, v41
	v_fma_f16 v87, v8, v19, v87
	v_mul_f16_sdwa v19, v8, v19 dst_sel:DWORD dst_unused:UNUSED_PAD src0_sel:WORD_1 src1_sel:DWORD
	ds_read2_b32 v[47:48], v55 offset0:120 offset1:150
	v_fma_f16 v8, v8, v51, -v19
	v_mul_f16_sdwa v19, v9, v53 dst_sel:DWORD dst_unused:UNUSED_PAD src0_sel:WORD_1 src1_sel:DWORD
	s_waitcnt lgkmcnt(2)
	v_lshrrev_b32_e32 v54, 16, v44
	v_fma_f16 v19, v9, v41, v19
	v_mul_f16_sdwa v41, v9, v41 dst_sel:DWORD dst_unused:UNUSED_PAD src0_sel:WORD_1 src1_sel:DWORD
	v_fma_f16 v9, v9, v53, -v41
	v_mul_f16_sdwa v41, v10, v54 dst_sel:DWORD dst_unused:UNUSED_PAD src0_sel:WORD_1 src1_sel:DWORD
	s_waitcnt lgkmcnt(1)
	v_lshrrev_b32_e32 v67, 16, v45
	v_fma_f16 v41, v10, v44, v41
	v_mul_f16_sdwa v44, v10, v44 dst_sel:DWORD dst_unused:UNUSED_PAD src0_sel:WORD_1 src1_sel:DWORD
	ds_read2_b32 v[49:50], v15 offset0:44 offset1:74
	v_fma_f16 v10, v10, v54, -v44
	v_mul_f16_sdwa v44, v11, v67 dst_sel:DWORD dst_unused:UNUSED_PAD src0_sel:WORD_1 src1_sel:DWORD
	s_waitcnt lgkmcnt(1)
	v_lshrrev_b32_e32 v70, 16, v47
	v_fma_f16 v44, v11, v45, v44
	v_mul_f16_sdwa v45, v11, v45 dst_sel:DWORD dst_unused:UNUSED_PAD src0_sel:WORD_1 src1_sel:DWORD
	v_fma_f16 v11, v11, v67, -v45
	v_mul_f16_sdwa v45, v4, v70 dst_sel:DWORD dst_unused:UNUSED_PAD src0_sel:WORD_1 src1_sel:DWORD
	v_lshrrev_b32_e32 v71, 16, v42
	v_fma_f16 v45, v4, v47, v45
	v_mul_f16_sdwa v47, v4, v47 dst_sel:DWORD dst_unused:UNUSED_PAD src0_sel:WORD_1 src1_sel:DWORD
	v_fma_f16 v4, v4, v70, -v47
	v_mul_f16_sdwa v47, v5, v71 dst_sel:DWORD dst_unused:UNUSED_PAD src0_sel:WORD_1 src1_sel:DWORD
	s_waitcnt lgkmcnt(0)
	v_lshrrev_b32_e32 v72, 16, v49
	v_fma_f16 v47, v5, v42, v47
	v_mul_f16_sdwa v42, v5, v42 dst_sel:DWORD dst_unused:UNUSED_PAD src0_sel:WORD_1 src1_sel:DWORD
	v_fma_f16 v5, v5, v71, -v42
	v_mul_f16_sdwa v42, v6, v72 dst_sel:DWORD dst_unused:UNUSED_PAD src0_sel:WORD_1 src1_sel:DWORD
	v_lshrrev_b32_e32 v73, 16, v46
	v_fma_f16 v42, v6, v49, v42
	v_mul_f16_sdwa v49, v6, v49 dst_sel:DWORD dst_unused:UNUSED_PAD src0_sel:WORD_1 src1_sel:DWORD
	v_fma_f16 v6, v6, v72, -v49
	v_mul_f16_sdwa v49, v7, v73 dst_sel:DWORD dst_unused:UNUSED_PAD src0_sel:WORD_1 src1_sel:DWORD
	v_lshrrev_b32_e32 v83, 16, v48
	v_fma_f16 v49, v7, v46, v49
	v_mul_f16_sdwa v46, v7, v46 dst_sel:DWORD dst_unused:UNUSED_PAD src0_sel:WORD_1 src1_sel:DWORD
	ds_read_b32 v75, v55 offset:1680
	v_fma_f16 v7, v7, v73, -v46
	v_mul_f16_sdwa v46, v0, v83 dst_sel:DWORD dst_unused:UNUSED_PAD src0_sel:WORD_1 src1_sel:DWORD
	v_lshrrev_b32_e32 v84, 16, v43
	v_fma_f16 v46, v0, v48, v46
	v_mul_f16_sdwa v48, v0, v48 dst_sel:DWORD dst_unused:UNUSED_PAD src0_sel:WORD_1 src1_sel:DWORD
	v_fma_f16 v0, v0, v83, -v48
	v_mul_f16_sdwa v48, v1, v84 dst_sel:DWORD dst_unused:UNUSED_PAD src0_sel:WORD_1 src1_sel:DWORD
	v_lshrrev_b32_e32 v85, 16, v50
	v_fma_f16 v48, v1, v43, v48
	v_mul_f16_sdwa v43, v1, v43 dst_sel:DWORD dst_unused:UNUSED_PAD src0_sel:WORD_1 src1_sel:DWORD
	v_add_f16_e32 v53, v19, v41
	v_fma_f16 v1, v1, v84, -v43
	v_mul_f16_sdwa v43, v2, v85 dst_sel:DWORD dst_unused:UNUSED_PAD src0_sel:WORD_1 src1_sel:DWORD
	v_fma_f16 v53, v53, -0.5, v16
	v_sub_f16_e32 v54, v8, v11
	s_waitcnt lgkmcnt(0)
	v_lshrrev_b32_e32 v86, 16, v75
	v_fma_f16 v43, v2, v50, v43
	v_mul_f16_sdwa v50, v2, v50 dst_sel:DWORD dst_unused:UNUSED_PAD src0_sel:WORD_1 src1_sel:DWORD
	v_fma_f16 v67, v54, s5, v53
	v_sub_f16_e32 v70, v9, v10
	v_sub_f16_e32 v71, v87, v19
	;; [unrolled: 1-line block ×3, first 2 shown]
	v_fma_f16 v53, v54, s13, v53
	v_fma_f16 v2, v2, v85, -v50
	v_mul_f16_sdwa v50, v3, v86 dst_sel:DWORD dst_unused:UNUSED_PAD src0_sel:WORD_1 src1_sel:DWORD
	v_mul_f16_sdwa v51, v3, v75 dst_sel:DWORD dst_unused:UNUSED_PAD src0_sel:WORD_1 src1_sel:DWORD
	v_fma_f16 v67, v70, s4, v67
	v_add_f16_e32 v71, v71, v72
	v_fma_f16 v53, v70, s14, v53
	v_fma_f16 v50, v3, v75, v50
	v_fma_f16 v3, v3, v86, -v51
	v_add_f16_e32 v51, v16, v87
	v_fma_f16 v67, v71, s12, v67
	v_fma_f16 v53, v71, s12, v53
	v_add_f16_e32 v71, v87, v44
	v_lshrrev_b32_e32 v20, 16, v16
	v_add_f16_e32 v51, v51, v19
	v_fma_f16 v16, v71, -0.5, v16
	v_add_f16_e32 v51, v51, v41
	v_fma_f16 v71, v70, s13, v16
	v_sub_f16_e32 v72, v19, v87
	v_sub_f16_e32 v73, v41, v44
	v_fma_f16 v16, v70, s5, v16
	v_add_f16_e32 v70, v9, v10
	v_add_f16_e32 v51, v51, v44
	v_fma_f16 v71, v54, s4, v71
	v_add_f16_e32 v72, v72, v73
	v_fma_f16 v16, v54, s14, v16
	v_fma_f16 v70, v70, -0.5, v20
	v_sub_f16_e32 v44, v87, v44
	v_fma_f16 v71, v72, s12, v71
	v_fma_f16 v16, v72, s12, v16
	;; [unrolled: 1-line block ×3, first 2 shown]
	v_sub_f16_e32 v19, v19, v41
	v_fma_f16 v41, v19, s14, v72
	v_sub_f16_e32 v72, v8, v9
	v_sub_f16_e32 v73, v11, v10
	v_fma_f16 v70, v44, s5, v70
	v_add_f16_e32 v54, v20, v8
	v_add_f16_e32 v72, v72, v73
	v_fma_f16 v70, v19, s4, v70
	v_add_f16_e32 v54, v54, v9
	v_fma_f16 v41, v72, s12, v41
	v_fma_f16 v70, v72, s12, v70
	v_add_f16_e32 v72, v8, v11
	v_add_f16_e32 v54, v54, v10
	v_fma_f16 v20, v72, -0.5, v20
	v_add_f16_e32 v54, v54, v11
	v_fma_f16 v72, v19, s5, v20
	v_sub_f16_e32 v8, v9, v8
	v_sub_f16_e32 v9, v10, v11
	v_add_f16_e32 v11, v47, v42
	v_fma_f16 v72, v44, s14, v72
	v_add_f16_e32 v8, v8, v9
	v_fma_f16 v10, v19, s13, v20
	v_fma_f16 v11, v11, -0.5, v17
	v_sub_f16_e32 v19, v4, v7
	v_fma_f16 v9, v8, s12, v72
	v_fma_f16 v10, v44, s4, v10
	;; [unrolled: 1-line block ×3, first 2 shown]
	v_sub_f16_e32 v44, v5, v6
	v_sub_f16_e32 v72, v45, v47
	;; [unrolled: 1-line block ×3, first 2 shown]
	v_fma_f16 v11, v19, s13, v11
	v_fma_f16 v20, v44, s4, v20
	v_add_f16_e32 v72, v72, v73
	v_fma_f16 v11, v44, s14, v11
	v_fma_f16 v20, v72, s12, v20
	;; [unrolled: 1-line block ×3, first 2 shown]
	v_add_f16_e32 v72, v45, v49
	v_lshrrev_b32_e32 v69, 16, v17
	v_fma_f16 v8, v8, s12, v10
	v_add_f16_e32 v10, v17, v45
	v_fma_f16 v17, v72, -0.5, v17
	v_add_f16_e32 v10, v10, v47
	v_fma_f16 v72, v44, s13, v17
	v_fma_f16 v17, v44, s5, v17
	v_add_f16_e32 v44, v5, v6
	v_add_f16_e32 v10, v10, v42
	v_sub_f16_e32 v73, v47, v45
	v_sub_f16_e32 v75, v42, v49
	v_fma_f16 v44, v44, -0.5, v69
	v_sub_f16_e32 v45, v45, v49
	v_add_f16_e32 v10, v10, v49
	v_fma_f16 v72, v19, s4, v72
	v_add_f16_e32 v73, v73, v75
	v_fma_f16 v17, v19, s14, v17
	v_fma_f16 v49, v45, s13, v44
	v_sub_f16_e32 v42, v47, v42
	v_fma_f16 v72, v73, s12, v72
	v_fma_f16 v17, v73, s12, v17
	;; [unrolled: 1-line block ×3, first 2 shown]
	v_sub_f16_e32 v49, v4, v5
	v_sub_f16_e32 v73, v7, v6
	v_fma_f16 v44, v45, s5, v44
	v_add_f16_e32 v19, v69, v4
	v_add_f16_e32 v49, v49, v73
	v_fma_f16 v44, v42, s4, v44
	v_add_f16_e32 v19, v19, v5
	v_fma_f16 v47, v49, s12, v47
	v_fma_f16 v44, v49, s12, v44
	v_add_f16_e32 v49, v4, v7
	v_add_f16_e32 v19, v19, v6
	v_fma_f16 v49, v49, -0.5, v69
	v_add_f16_e32 v19, v19, v7
	v_fma_f16 v69, v42, s5, v49
	v_sub_f16_e32 v4, v5, v4
	v_sub_f16_e32 v5, v6, v7
	v_add_f16_e32 v7, v48, v43
	v_fma_f16 v69, v45, s14, v69
	v_add_f16_e32 v4, v4, v5
	v_fma_f16 v6, v42, s13, v49
	v_fma_f16 v7, v7, -0.5, v18
	v_sub_f16_e32 v42, v0, v3
	v_fma_f16 v5, v4, s12, v69
	v_fma_f16 v6, v45, s4, v6
	;; [unrolled: 1-line block ×3, first 2 shown]
	v_sub_f16_e32 v49, v1, v2
	v_sub_f16_e32 v69, v46, v48
	;; [unrolled: 1-line block ×3, first 2 shown]
	v_fma_f16 v7, v42, s13, v7
	v_fma_f16 v45, v49, s4, v45
	v_add_f16_e32 v69, v69, v73
	v_fma_f16 v7, v49, s14, v7
	v_fma_f16 v45, v69, s12, v45
	;; [unrolled: 1-line block ×3, first 2 shown]
	v_add_f16_e32 v69, v46, v50
	v_lshrrev_b32_e32 v82, 16, v18
	v_fma_f16 v4, v4, s12, v6
	v_add_f16_e32 v6, v18, v46
	v_fma_f16 v18, v69, -0.5, v18
	v_add_f16_e32 v6, v6, v48
	v_fma_f16 v69, v49, s13, v18
	v_fma_f16 v18, v49, s5, v18
	v_add_f16_e32 v49, v1, v2
	v_add_f16_e32 v6, v6, v43
	v_sub_f16_e32 v73, v48, v46
	v_sub_f16_e32 v75, v43, v50
	v_fma_f16 v49, v49, -0.5, v82
	v_sub_f16_e32 v46, v46, v50
	v_add_f16_e32 v6, v6, v50
	v_fma_f16 v69, v42, s4, v69
	v_add_f16_e32 v73, v73, v75
	v_fma_f16 v18, v42, s14, v18
	v_fma_f16 v50, v46, s13, v49
	v_sub_f16_e32 v43, v48, v43
	v_fma_f16 v69, v73, s12, v69
	v_fma_f16 v18, v73, s12, v18
	;; [unrolled: 1-line block ×3, first 2 shown]
	v_sub_f16_e32 v50, v0, v1
	v_sub_f16_e32 v73, v3, v2
	v_fma_f16 v49, v46, s5, v49
	v_add_f16_e32 v50, v50, v73
	v_fma_f16 v49, v43, s4, v49
	v_add_f16_e32 v42, v82, v0
	v_fma_f16 v48, v50, s12, v48
	v_fma_f16 v49, v50, s12, v49
	v_add_f16_e32 v50, v0, v3
	v_add_f16_e32 v42, v42, v1
	v_fma_f16 v50, v50, -0.5, v82
	v_add_f16_e32 v42, v42, v2
	v_fma_f16 v73, v43, s5, v50
	v_sub_f16_e32 v0, v1, v0
	v_sub_f16_e32 v1, v2, v3
	v_fma_f16 v2, v43, s13, v50
	v_fma_f16 v73, v46, s14, v73
	v_add_f16_e32 v0, v0, v1
	v_fma_f16 v2, v46, s4, v2
	v_add_f16_e32 v42, v42, v3
	v_fma_f16 v1, v0, s12, v73
	v_fma_f16 v0, v0, s12, v2
	v_pack_b32_f16 v2, v51, v54
	v_pack_b32_f16 v3, v67, v41
	s_barrier
	ds_write2_b32 v74, v2, v3 offset1:10
	v_pack_b32_f16 v2, v71, v9
	v_pack_b32_f16 v3, v16, v8
	ds_write2_b32 v74, v2, v3 offset0:20 offset1:30
	v_pack_b32_f16 v2, v53, v70
	ds_write_b32 v74, v2 offset:160
	v_pack_b32_f16 v2, v10, v19
	v_pack_b32_f16 v3, v20, v47
	ds_write2_b32 v76, v2, v3 offset1:10
	v_pack_b32_f16 v2, v72, v5
	v_pack_b32_f16 v3, v17, v4
	ds_write2_b32 v76, v2, v3 offset0:20 offset1:30
	v_pack_b32_f16 v2, v11, v44
	v_pack_b32_f16 v1, v69, v1
	;; [unrolled: 1-line block ×3, first 2 shown]
	ds_write_b32 v76, v2 offset:160
	v_pack_b32_f16 v2, v6, v42
	v_pack_b32_f16 v3, v45, v48
	ds_write2_b32 v77, v1, v0 offset0:20 offset1:30
	v_pack_b32_f16 v0, v7, v49
	ds_write2_b32 v77, v2, v3 offset1:10
	ds_write_b32 v77, v0 offset:160
	s_waitcnt lgkmcnt(0)
	s_barrier
	ds_read2_b32 v[0:1], v55 offset1:30
	ds_read2_b32 v[2:3], v55 offset0:120 offset1:150
	ds_read2_b32 v[4:5], v15 offset0:44 offset1:74
	;; [unrolled: 1-line block ×5, first 2 shown]
	s_waitcnt lgkmcnt(4)
	v_lshrrev_b32_e32 v19, 16, v3
	v_mul_f16_sdwa v67, v21, v19 dst_sel:DWORD dst_unused:UNUSED_PAD src0_sel:WORD_1 src1_sel:DWORD
	s_waitcnt lgkmcnt(3)
	v_lshrrev_b32_e32 v20, 16, v4
	v_lshrrev_b32_e32 v43, 16, v5
	v_fma_f16 v67, v21, v3, v67
	v_mul_f16_sdwa v3, v21, v3 dst_sel:DWORD dst_unused:UNUSED_PAD src0_sel:WORD_1 src1_sel:DWORD
	ds_read_b32 v48, v55 offset:1680
	v_fma_f16 v3, v21, v19, -v3
	v_mul_f16_sdwa v19, v22, v20 dst_sel:DWORD dst_unused:UNUSED_PAD src0_sel:WORD_1 src1_sel:DWORD
	v_mul_f16_sdwa v21, v26, v43 dst_sel:DWORD dst_unused:UNUSED_PAD src0_sel:WORD_1 src1_sel:DWORD
	s_waitcnt lgkmcnt(3)
	v_lshrrev_b32_e32 v42, 16, v6
	s_waitcnt lgkmcnt(2)
	v_lshrrev_b32_e32 v49, 16, v16
	v_fma_f16 v19, v22, v4, v19
	v_mul_f16_sdwa v4, v22, v4 dst_sel:DWORD dst_unused:UNUSED_PAD src0_sel:WORD_1 src1_sel:DWORD
	v_fma_f16 v21, v26, v5, v21
	v_mul_f16_sdwa v5, v26, v5 dst_sel:DWORD dst_unused:UNUSED_PAD src0_sel:WORD_1 src1_sel:DWORD
	v_fma_f16 v4, v22, v20, -v4
	v_mul_f16_sdwa v20, v25, v42 dst_sel:DWORD dst_unused:UNUSED_PAD src0_sel:WORD_1 src1_sel:DWORD
	v_fma_f16 v5, v26, v43, -v5
	v_mul_f16_sdwa v26, v23, v49 dst_sel:DWORD dst_unused:UNUSED_PAD src0_sel:WORD_1 src1_sel:DWORD
	v_lshrrev_b32_e32 v45, 16, v7
	s_waitcnt lgkmcnt(1)
	v_lshrrev_b32_e32 v46, 16, v10
	v_lshrrev_b32_e32 v50, 16, v11
	v_fma_f16 v20, v25, v6, v20
	v_mul_f16_sdwa v6, v25, v6 dst_sel:DWORD dst_unused:UNUSED_PAD src0_sel:WORD_1 src1_sel:DWORD
	v_fma_f16 v26, v23, v16, v26
	v_mul_f16_sdwa v16, v23, v16 dst_sel:DWORD dst_unused:UNUSED_PAD src0_sel:WORD_1 src1_sel:DWORD
	v_fma_f16 v6, v25, v42, -v6
	v_mul_f16_sdwa v22, v27, v45 dst_sel:DWORD dst_unused:UNUSED_PAD src0_sel:WORD_1 src1_sel:DWORD
	v_mul_f16_sdwa v25, v28, v46 dst_sel:DWORD dst_unused:UNUSED_PAD src0_sel:WORD_1 src1_sel:DWORD
	v_fma_f16 v16, v23, v49, -v16
	v_mul_f16_sdwa v23, v24, v50 dst_sel:DWORD dst_unused:UNUSED_PAD src0_sel:WORD_1 src1_sel:DWORD
	v_lshrrev_b32_e32 v53, 16, v17
	s_waitcnt lgkmcnt(0)
	v_lshrrev_b32_e32 v54, 16, v48
	v_fma_f16 v22, v27, v7, v22
	v_mul_f16_sdwa v7, v27, v7 dst_sel:DWORD dst_unused:UNUSED_PAD src0_sel:WORD_1 src1_sel:DWORD
	v_fma_f16 v25, v28, v10, v25
	v_mul_f16_sdwa v10, v28, v10 dst_sel:DWORD dst_unused:UNUSED_PAD src0_sel:WORD_1 src1_sel:DWORD
	;; [unrolled: 2-line block ×3, first 2 shown]
	v_fma_f16 v7, v27, v45, -v7
	v_fma_f16 v10, v28, v46, -v10
	;; [unrolled: 1-line block ×3, first 2 shown]
	v_mul_f16_sdwa v24, v29, v53 dst_sel:DWORD dst_unused:UNUSED_PAD src0_sel:WORD_1 src1_sel:DWORD
	v_mul_f16_sdwa v27, v30, v54 dst_sel:DWORD dst_unused:UNUSED_PAD src0_sel:WORD_1 src1_sel:DWORD
	;; [unrolled: 1-line block ×3, first 2 shown]
	v_fma_f16 v24, v29, v17, v24
	v_mul_f16_sdwa v17, v29, v17 dst_sel:DWORD dst_unused:UNUSED_PAD src0_sel:WORD_1 src1_sel:DWORD
	v_fma_f16 v27, v30, v48, v27
	v_fma_f16 v28, v30, v54, -v28
	v_add_f16_e32 v30, v67, v19
	v_lshrrev_b32_e32 v18, 16, v0
	v_fma_f16 v17, v29, v53, -v17
	v_add_f16_e32 v29, v0, v67
	v_fma_f16 v0, v30, -0.5, v0
	v_sub_f16_e32 v30, v3, v4
	s_mov_b32 s2, 0xbaee
	s_movk_i32 s3, 0x3aee
	v_fma_f16 v42, v30, s2, v0
	v_fma_f16 v0, v30, s3, v0
	v_add_f16_e32 v30, v18, v3
	v_add_f16_e32 v3, v3, v4
	ds_read2_b32 v[8:9], v55 offset0:60 offset1:90
	v_add_f16_e32 v29, v29, v19
	v_add_f16_e32 v30, v30, v4
	v_fma_f16 v3, v3, -0.5, v18
	v_sub_f16_e32 v4, v67, v19
	v_add_f16_e32 v19, v20, v21
	v_lshrrev_b32_e32 v41, 16, v1
	v_fma_f16 v18, v4, s3, v3
	v_fma_f16 v3, v4, s2, v3
	v_add_f16_e32 v4, v1, v20
	v_fma_f16 v1, v19, -0.5, v1
	v_sub_f16_e32 v19, v6, v5
	v_fma_f16 v43, v19, s2, v1
	v_fma_f16 v1, v19, s3, v1
	v_add_f16_e32 v19, v41, v6
	v_add_f16_e32 v19, v19, v5
	;; [unrolled: 1-line block ×4, first 2 shown]
	v_fma_f16 v5, v5, -0.5, v41
	v_sub_f16_e32 v6, v20, v21
	v_add_f16_e32 v21, v22, v25
	s_waitcnt lgkmcnt(0)
	v_lshrrev_b32_e32 v44, 16, v8
	v_fma_f16 v20, v6, s3, v5
	v_fma_f16 v5, v6, s2, v5
	v_add_f16_e32 v6, v8, v22
	v_fma_f16 v8, v21, -0.5, v8
	v_sub_f16_e32 v21, v7, v10
	v_fma_f16 v41, v21, s2, v8
	v_fma_f16 v8, v21, s3, v8
	v_add_f16_e32 v21, v44, v7
	v_add_f16_e32 v7, v7, v10
	;; [unrolled: 1-line block ×4, first 2 shown]
	v_fma_f16 v7, v7, -0.5, v44
	v_sub_f16_e32 v10, v22, v25
	v_add_f16_e32 v25, v26, v23
	v_lshrrev_b32_e32 v47, 16, v9
	v_fma_f16 v22, v10, s3, v7
	v_fma_f16 v7, v10, s2, v7
	v_add_f16_e32 v10, v9, v26
	v_fma_f16 v9, v25, -0.5, v9
	v_sub_f16_e32 v25, v16, v11
	v_fma_f16 v44, v25, s2, v9
	v_fma_f16 v9, v25, s3, v9
	v_add_f16_e32 v25, v47, v16
	v_add_f16_e32 v25, v25, v11
	;; [unrolled: 1-line block ×3, first 2 shown]
	v_fma_f16 v11, v11, -0.5, v47
	v_sub_f16_e32 v16, v26, v23
	v_add_f16_e32 v26, v24, v27
	v_lshrrev_b32_e32 v51, 16, v2
	v_add_f16_e32 v10, v10, v23
	v_fma_f16 v23, v16, s3, v11
	v_fma_f16 v11, v16, s2, v11
	v_add_f16_e32 v16, v2, v24
	v_fma_f16 v2, v26, -0.5, v2
	v_sub_f16_e32 v26, v17, v28
	v_fma_f16 v45, v26, s2, v2
	v_fma_f16 v2, v26, s3, v2
	v_add_f16_e32 v26, v51, v17
	v_add_f16_e32 v17, v17, v28
	v_fma_f16 v17, v17, -0.5, v51
	v_sub_f16_e32 v24, v24, v27
	v_pack_b32_f16 v0, v0, v3
	v_add_f16_e32 v16, v16, v27
	v_fma_f16 v27, v24, s3, v17
	v_fma_f16 v17, v24, s2, v17
	s_barrier
	v_pack_b32_f16 v24, v29, v30
	v_pack_b32_f16 v18, v42, v18
	ds_write_b32 v55, v0 offset:400
	v_pack_b32_f16 v0, v4, v19
	v_pack_b32_f16 v3, v43, v20
	ds_write2_b32 v55, v24, v18 offset1:50
	ds_write2_b32 v78, v0, v3 offset1:50
	v_pack_b32_f16 v0, v1, v5
	ds_write_b32 v78, v0 offset:400
	v_pack_b32_f16 v0, v6, v21
	v_pack_b32_f16 v1, v41, v22
	ds_write2_b32 v55, v0, v1 offset0:160 offset1:210
	v_pack_b32_f16 v0, v8, v7
	ds_write_b32 v55, v0 offset:1040
	v_pack_b32_f16 v0, v10, v25
	v_pack_b32_f16 v1, v44, v23
	v_add_f16_e32 v26, v26, v28
	ds_write2_b32 v79, v0, v1 offset1:50
	v_pack_b32_f16 v0, v9, v11
	ds_write_b32 v79, v0 offset:400
	v_pack_b32_f16 v0, v16, v26
	v_pack_b32_f16 v1, v45, v27
	v_add_u32_e32 v3, 0x400, v80
	ds_write2_b32 v3, v0, v1 offset0:44 offset1:94
	v_pack_b32_f16 v0, v2, v17
	ds_write_b32 v80, v0 offset:1600
	s_waitcnt lgkmcnt(0)
	s_barrier
	ds_read2_b32 v[0:1], v55 offset1:30
	ds_read2_b32 v[2:3], v55 offset0:120 offset1:150
	ds_read2_b32 v[4:5], v15 offset0:44 offset1:74
	;; [unrolled: 1-line block ×5, first 2 shown]
	s_waitcnt lgkmcnt(4)
	v_lshrrev_b32_e32 v19, 16, v3
	v_mul_f16_sdwa v44, v39, v19 dst_sel:DWORD dst_unused:UNUSED_PAD src0_sel:WORD_1 src1_sel:DWORD
	s_waitcnt lgkmcnt(3)
	v_lshrrev_b32_e32 v20, 16, v4
	v_fma_f16 v44, v39, v3, v44
	v_mul_f16_sdwa v3, v39, v3 dst_sel:DWORD dst_unused:UNUSED_PAD src0_sel:WORD_1 src1_sel:DWORD
	v_fma_f16 v3, v39, v19, -v3
	v_mul_f16_sdwa v19, v40, v20 dst_sel:DWORD dst_unused:UNUSED_PAD src0_sel:WORD_1 src1_sel:DWORD
	s_waitcnt lgkmcnt(2)
	v_lshrrev_b32_e32 v22, 16, v6
	v_fma_f16 v19, v40, v4, v19
	v_mul_f16_sdwa v4, v40, v4 dst_sel:DWORD dst_unused:UNUSED_PAD src0_sel:WORD_1 src1_sel:DWORD
	v_fma_f16 v4, v40, v20, -v4
	v_mul_f16_sdwa v20, v37, v22 dst_sel:DWORD dst_unused:UNUSED_PAD src0_sel:WORD_1 src1_sel:DWORD
	v_lshrrev_b32_e32 v23, 16, v5
	v_fma_f16 v20, v37, v6, v20
	v_mul_f16_sdwa v6, v37, v6 dst_sel:DWORD dst_unused:UNUSED_PAD src0_sel:WORD_1 src1_sel:DWORD
	v_fma_f16 v6, v37, v22, -v6
	v_mul_f16_sdwa v22, v38, v23 dst_sel:DWORD dst_unused:UNUSED_PAD src0_sel:WORD_1 src1_sel:DWORD
	;; [unrolled: 5-line block ×3, first 2 shown]
	s_waitcnt lgkmcnt(1)
	v_lshrrev_b32_e32 v26, 16, v10
	v_fma_f16 v23, v35, v7, v23
	v_mul_f16_sdwa v7, v35, v7 dst_sel:DWORD dst_unused:UNUSED_PAD src0_sel:WORD_1 src1_sel:DWORD
	v_fma_f16 v7, v35, v25, -v7
	v_mul_f16_sdwa v25, v36, v26 dst_sel:DWORD dst_unused:UNUSED_PAD src0_sel:WORD_1 src1_sel:DWORD
	s_waitcnt lgkmcnt(0)
	v_lshrrev_b32_e32 v29, 16, v16
	v_fma_f16 v25, v36, v10, v25
	v_mul_f16_sdwa v10, v36, v10 dst_sel:DWORD dst_unused:UNUSED_PAD src0_sel:WORD_1 src1_sel:DWORD
	ds_read_b32 v28, v55 offset:1680
	v_fma_f16 v10, v36, v26, -v10
	v_mul_f16_sdwa v26, v31, v29 dst_sel:DWORD dst_unused:UNUSED_PAD src0_sel:WORD_1 src1_sel:DWORD
	v_lshrrev_b32_e32 v30, 16, v11
	v_fma_f16 v26, v31, v16, v26
	v_mul_f16_sdwa v16, v31, v16 dst_sel:DWORD dst_unused:UNUSED_PAD src0_sel:WORD_1 src1_sel:DWORD
	v_fma_f16 v16, v31, v29, -v16
	v_mul_f16_sdwa v29, v32, v30 dst_sel:DWORD dst_unused:UNUSED_PAD src0_sel:WORD_1 src1_sel:DWORD
	v_lshrrev_b32_e32 v42, 16, v17
	v_fma_f16 v29, v32, v11, v29
	v_mul_f16_sdwa v11, v32, v11 dst_sel:DWORD dst_unused:UNUSED_PAD src0_sel:WORD_1 src1_sel:DWORD
	v_fma_f16 v11, v32, v30, -v11
	v_mul_f16_sdwa v30, v33, v42 dst_sel:DWORD dst_unused:UNUSED_PAD src0_sel:WORD_1 src1_sel:DWORD
	s_waitcnt lgkmcnt(0)
	v_lshrrev_b32_e32 v43, 16, v28
	v_fma_f16 v30, v33, v17, v30
	v_mul_f16_sdwa v17, v33, v17 dst_sel:DWORD dst_unused:UNUSED_PAD src0_sel:WORD_1 src1_sel:DWORD
	v_fma_f16 v17, v33, v42, -v17
	v_mul_f16_sdwa v31, v34, v43 dst_sel:DWORD dst_unused:UNUSED_PAD src0_sel:WORD_1 src1_sel:DWORD
	v_add_f16_e32 v33, v44, v19
	v_lshrrev_b32_e32 v18, 16, v0
	v_fma_f16 v31, v34, v28, v31
	v_mul_f16_sdwa v28, v34, v28 dst_sel:DWORD dst_unused:UNUSED_PAD src0_sel:WORD_1 src1_sel:DWORD
	v_add_f16_e32 v32, v0, v44
	v_fma_f16 v0, v33, -0.5, v0
	v_sub_f16_e32 v33, v3, v4
	v_fma_f16 v28, v34, v43, -v28
	v_fma_f16 v34, v33, s2, v0
	v_fma_f16 v0, v33, s3, v0
	v_add_f16_e32 v33, v18, v3
	v_add_f16_e32 v3, v3, v4
	ds_read2_b32 v[8:9], v55 offset0:60 offset1:90
	v_add_f16_e32 v32, v32, v19
	v_add_f16_e32 v33, v33, v4
	v_fma_f16 v3, v3, -0.5, v18
	v_sub_f16_e32 v4, v44, v19
	v_add_f16_e32 v19, v20, v22
	v_lshrrev_b32_e32 v21, 16, v1
	v_fma_f16 v18, v4, s3, v3
	v_fma_f16 v3, v4, s2, v3
	v_add_f16_e32 v4, v1, v20
	v_fma_f16 v1, v19, -0.5, v1
	v_sub_f16_e32 v19, v6, v5
	v_fma_f16 v35, v19, s2, v1
	v_fma_f16 v1, v19, s3, v1
	v_add_f16_e32 v19, v21, v6
	v_add_f16_e32 v19, v19, v5
	;; [unrolled: 1-line block ×3, first 2 shown]
	v_fma_f16 v5, v5, -0.5, v21
	v_sub_f16_e32 v6, v20, v22
	v_add_f16_e32 v21, v23, v25
	s_waitcnt lgkmcnt(0)
	v_lshrrev_b32_e32 v24, 16, v8
	v_fma_f16 v20, v6, s3, v5
	v_fma_f16 v5, v6, s2, v5
	v_add_f16_e32 v6, v8, v23
	v_fma_f16 v8, v21, -0.5, v8
	v_sub_f16_e32 v21, v7, v10
	v_add_f16_e32 v4, v4, v22
	v_fma_f16 v22, v21, s2, v8
	v_fma_f16 v8, v21, s3, v8
	v_add_f16_e32 v21, v24, v7
	v_add_f16_e32 v7, v7, v10
	v_add_f16_e32 v21, v21, v10
	v_fma_f16 v7, v7, -0.5, v24
	v_sub_f16_e32 v10, v23, v25
	v_add_f16_e32 v24, v26, v29
	v_lshrrev_b32_e32 v27, 16, v9
	v_fma_f16 v23, v10, s3, v7
	v_fma_f16 v7, v10, s2, v7
	v_add_f16_e32 v10, v9, v26
	v_fma_f16 v9, v24, -0.5, v9
	v_sub_f16_e32 v24, v16, v11
	v_add_f16_e32 v6, v6, v25
	v_fma_f16 v25, v24, s2, v9
	v_fma_f16 v9, v24, s3, v9
	v_add_f16_e32 v24, v27, v16
	v_add_f16_e32 v24, v24, v11
	;; [unrolled: 1-line block ×3, first 2 shown]
	v_fma_f16 v11, v11, -0.5, v27
	v_sub_f16_e32 v16, v26, v29
	v_add_f16_e32 v27, v30, v31
	v_lshrrev_b32_e32 v41, 16, v2
	v_fma_f16 v26, v16, s3, v11
	v_fma_f16 v11, v16, s2, v11
	v_add_f16_e32 v16, v2, v30
	v_fma_f16 v2, v27, -0.5, v2
	v_sub_f16_e32 v27, v17, v28
	v_add_f16_e32 v10, v10, v29
	v_fma_f16 v29, v27, s2, v2
	v_fma_f16 v2, v27, s3, v2
	v_add_f16_e32 v27, v41, v17
	v_add_f16_e32 v17, v17, v28
	;; [unrolled: 1-line block ×3, first 2 shown]
	v_fma_f16 v17, v17, -0.5, v41
	v_sub_f16_e32 v28, v30, v31
	v_fma_f16 v30, v28, s3, v17
	v_fma_f16 v17, v28, s2, v17
	v_pack_b32_f16 v28, v32, v33
	v_pack_b32_f16 v18, v34, v18
	;; [unrolled: 1-line block ×5, first 2 shown]
	ds_write_b32 v55, v28
	ds_write2_b32 v68, v18, v4 offset0:150 offset1:180
	v_pack_b32_f16 v1, v1, v5
	v_add_u32_e32 v4, 0x400, v68
	ds_write2_b32 v4, v0, v1 offset0:44 offset1:74
	v_pack_b32_f16 v0, v6, v21
	ds_write2_b32 v68, v3, v0 offset0:30 offset1:60
	v_pack_b32_f16 v0, v22, v23
	ds_write_b32 v68, v0 offset:840
	v_pack_b32_f16 v0, v8, v7
	ds_write_b32 v68, v0 offset:1440
	v_pack_b32_f16 v0, v10, v24
	ds_write_b32 v55, v0 offset:360
	v_pack_b32_f16 v0, v25, v26
	v_add_f16_e32 v16, v16, v31
	ds_write_b32 v68, v0 offset:960
	v_pack_b32_f16 v0, v9, v11
	ds_write_b32 v68, v0 offset:1560
	v_pack_b32_f16 v0, v16, v27
	;; [unrolled: 2-line block ×3, first 2 shown]
	v_pack_b32_f16 v1, v2, v17
	v_add_u32_e32 v2, 0x200, v81
	ds_write2_b32 v2, v0, v1 offset0:22 offset1:172
	s_waitcnt lgkmcnt(0)
	s_barrier
	ds_read2_b32 v[0:1], v55 offset1:45
	s_mov_b32 s12, 0x789abcdf
	s_mov_b32 s13, 0x3f623456
	v_mad_u64_u32 v[3:4], s[2:3], s10, v14, 0
	s_waitcnt lgkmcnt(0)
	v_lshrrev_b32_e32 v9, 16, v0
	v_mul_f16_sdwa v2, v66, v9 dst_sel:DWORD dst_unused:UNUSED_PAD src0_sel:WORD_1 src1_sel:DWORD
	v_fma_f16 v2, v66, v0, v2
	v_cvt_f32_f16_e32 v2, v2
	s_movk_i32 s15, 0x1ff
	s_movk_i32 s10, 0xffe
	v_mul_f16_sdwa v0, v66, v0 dst_sel:DWORD dst_unused:UNUSED_PAD src0_sel:WORD_1 src1_sel:DWORD
	v_cvt_f64_f32_e32 v[5:6], v2
	v_mov_b32_e32 v2, v4
	v_mad_u64_u32 v[7:8], s[2:3], s11, v14, v[2:3]
	v_mul_f64 v[5:6], v[5:6], s[12:13]
	v_fma_f16 v0, v66, v9, -v0
	v_mov_b32_e32 v4, v7
	v_cvt_f32_f16_e32 v0, v0
	s_movk_i32 s11, 0x40f
	s_mov_b32 s14, 0x8000
	v_lshlrev_b64 v[3:4], 2, v[3:4]
	v_and_or_b32 v2, v6, s15, v5
	v_cmp_ne_u32_e32 vcc, 0, v2
	v_cndmask_b32_e64 v2, 0, 1, vcc
	v_lshrrev_b32_e32 v5, 8, v6
	v_bfe_u32 v7, v6, 20, 11
	v_and_or_b32 v5, v5, s10, v2
	v_sub_u32_e32 v8, 0x3f1, v7
	v_or_b32_e32 v2, 0x1000, v5
	v_med3_i32 v8, v8, 0, 13
	v_lshrrev_b32_e32 v10, v8, v2
	v_lshlrev_b32_e32 v8, v8, v10
	v_cmp_ne_u32_e32 vcc, v8, v2
	v_cndmask_b32_e64 v2, 0, 1, vcc
	v_or_b32_e32 v2, v10, v2
	v_add_u32_e32 v10, 0xfffffc10, v7
	v_lshl_or_b32 v7, v10, 12, v5
	v_cmp_gt_i32_e32 vcc, 1, v10
	v_cndmask_b32_e32 v2, v7, v2, vcc
	v_and_b32_e32 v7, 7, v2
	v_cmp_lt_i32_e32 vcc, 5, v7
	v_cmp_eq_u32_e64 s[2:3], 3, v7
	v_cvt_f64_f32_e32 v[7:8], v0
	v_lshrrev_b32_e32 v2, 2, v2
	s_or_b64 vcc, s[2:3], vcc
	v_addc_co_u32_e32 v9, vcc, 0, v2, vcc
	v_mul_f64 v[7:8], v[7:8], s[12:13]
	v_mov_b32_e32 v2, 0x7c00
	v_cmp_gt_i32_e32 vcc, 31, v10
	v_cndmask_b32_e32 v0, v2, v9, vcc
	v_cmp_ne_u32_e32 vcc, 0, v5
	v_cndmask_b32_e64 v5, 0, 1, vcc
	v_lshl_or_b32 v5, v5, 9, v2
	v_cmp_eq_u32_e32 vcc, s11, v10
	v_cndmask_b32_e32 v0, v0, v5, vcc
	v_lshrrev_b32_e32 v5, 16, v6
	v_and_or_b32 v9, v5, s14, v0
	v_and_or_b32 v0, v8, s15, v7
	v_cmp_ne_u32_e32 vcc, 0, v0
	v_cndmask_b32_e64 v0, 0, 1, vcc
	v_lshrrev_b32_e32 v5, 8, v8
	v_bfe_u32 v6, v8, 20, 11
	v_and_or_b32 v0, v5, s10, v0
	v_sub_u32_e32 v7, 0x3f1, v6
	v_or_b32_e32 v5, 0x1000, v0
	v_med3_i32 v7, v7, 0, 13
	v_lshrrev_b32_e32 v10, v7, v5
	v_lshlrev_b32_e32 v7, v7, v10
	v_cmp_ne_u32_e32 vcc, v7, v5
	v_cndmask_b32_e64 v5, 0, 1, vcc
	v_add_u32_e32 v7, 0xfffffc10, v6
	v_or_b32_e32 v5, v10, v5
	v_lshl_or_b32 v6, v7, 12, v0
	v_cmp_gt_i32_e32 vcc, 1, v7
	v_cndmask_b32_e32 v5, v6, v5, vcc
	v_and_b32_e32 v6, 7, v5
	v_cmp_lt_i32_e32 vcc, 5, v6
	v_cmp_eq_u32_e64 s[2:3], 3, v6
	v_lshrrev_b32_e32 v5, 2, v5
	s_or_b64 vcc, s[2:3], vcc
	v_addc_co_u32_e32 v5, vcc, 0, v5, vcc
	v_cmp_gt_i32_e32 vcc, 31, v7
	v_cndmask_b32_e32 v10, v2, v5, vcc
	v_mad_u64_u32 v[5:6], s[2:3], s8, v65, 0
	v_cmp_ne_u32_e32 vcc, 0, v0
	v_cndmask_b32_e64 v0, 0, 1, vcc
	v_lshl_or_b32 v0, v0, 9, v2
	v_cmp_eq_u32_e32 vcc, s11, v7
	v_cndmask_b32_e32 v10, v10, v0, vcc
	v_mov_b32_e32 v0, v6
	v_mad_u64_u32 v[6:7], s[2:3], s9, v65, v[0:1]
	v_lshrrev_b32_e32 v0, 16, v1
	v_mul_f16_sdwa v7, v64, v0 dst_sel:DWORD dst_unused:UNUSED_PAD src0_sel:WORD_1 src1_sel:DWORD
	v_fma_f16 v7, v64, v1, v7
	v_cvt_f32_f16_e32 v7, v7
	v_lshrrev_b32_e32 v8, 16, v8
	v_and_or_b32 v10, v8, s14, v10
	v_and_b32_e32 v9, 0xffff, v9
	v_cvt_f64_f32_e32 v[7:8], v7
	v_lshl_or_b32 v9, v10, 16, v9
	v_mov_b32_e32 v10, s7
	v_add_co_u32_e32 v11, vcc, s6, v3
	v_mul_f64 v[7:8], v[7:8], s[12:13]
	v_addc_co_u32_e32 v10, vcc, v10, v4, vcc
	v_lshlrev_b64 v[3:4], 2, v[5:6]
	v_mul_f16_sdwa v1, v64, v1 dst_sel:DWORD dst_unused:UNUSED_PAD src0_sel:WORD_1 src1_sel:DWORD
	v_add_co_u32_e32 v3, vcc, v11, v3
	v_addc_co_u32_e32 v4, vcc, v10, v4, vcc
	v_and_or_b32 v5, v8, s15, v7
	v_cmp_ne_u32_e32 vcc, 0, v5
	v_fma_f16 v0, v64, v0, -v1
	v_cndmask_b32_e64 v5, 0, 1, vcc
	v_lshrrev_b32_e32 v6, 8, v8
	v_bfe_u32 v7, v8, 20, 11
	v_cvt_f32_f16_e32 v0, v0
	global_store_dword v[3:4], v9, off
	v_and_or_b32 v5, v6, s10, v5
	v_sub_u32_e32 v9, 0x3f1, v7
	v_or_b32_e32 v6, 0x1000, v5
	v_med3_i32 v9, v9, 0, 13
	v_lshrrev_b32_e32 v10, v9, v6
	v_lshlrev_b32_e32 v9, v9, v10
	v_cvt_f64_f32_e32 v[0:1], v0
	v_cmp_ne_u32_e32 vcc, v9, v6
	v_cndmask_b32_e64 v6, 0, 1, vcc
	v_add_u32_e32 v7, 0xfffffc10, v7
	v_or_b32_e32 v6, v10, v6
	v_lshl_or_b32 v9, v7, 12, v5
	v_cmp_gt_i32_e32 vcc, 1, v7
	v_cndmask_b32_e32 v6, v9, v6, vcc
	v_mul_f64 v[0:1], v[0:1], s[12:13]
	v_and_b32_e32 v9, 7, v6
	v_cmp_lt_i32_e32 vcc, 5, v9
	v_cmp_eq_u32_e64 s[2:3], 3, v9
	v_lshrrev_b32_e32 v6, 2, v6
	s_or_b64 vcc, s[2:3], vcc
	v_addc_co_u32_e32 v6, vcc, 0, v6, vcc
	v_cmp_gt_i32_e32 vcc, 31, v7
	v_cndmask_b32_e32 v6, v2, v6, vcc
	v_cmp_ne_u32_e32 vcc, 0, v5
	v_cndmask_b32_e64 v5, 0, 1, vcc
	v_lshl_or_b32 v5, v5, 9, v2
	v_cmp_eq_u32_e32 vcc, s11, v7
	v_and_or_b32 v0, v1, s15, v0
	v_cndmask_b32_e32 v5, v6, v5, vcc
	v_lshrrev_b32_e32 v6, 16, v8
	v_cmp_ne_u32_e32 vcc, 0, v0
	v_and_or_b32 v7, v6, s14, v5
	v_cndmask_b32_e64 v0, 0, 1, vcc
	v_lshrrev_b32_e32 v5, 8, v1
	v_bfe_u32 v6, v1, 20, 11
	v_and_or_b32 v0, v5, s10, v0
	v_sub_u32_e32 v8, 0x3f1, v6
	v_or_b32_e32 v5, 0x1000, v0
	v_med3_i32 v8, v8, 0, 13
	v_lshrrev_b32_e32 v9, v8, v5
	v_lshlrev_b32_e32 v8, v8, v9
	v_cmp_ne_u32_e32 vcc, v8, v5
	v_cndmask_b32_e64 v5, 0, 1, vcc
	v_add_u32_e32 v8, 0xfffffc10, v6
	v_or_b32_e32 v5, v9, v5
	v_lshl_or_b32 v6, v8, 12, v0
	v_cmp_gt_i32_e32 vcc, 1, v8
	v_cndmask_b32_e32 v5, v6, v5, vcc
	v_and_b32_e32 v6, 7, v5
	v_cmp_lt_i32_e32 vcc, 5, v6
	v_cmp_eq_u32_e64 s[2:3], 3, v6
	v_lshrrev_b32_e32 v5, 2, v5
	s_or_b64 vcc, s[2:3], vcc
	v_addc_co_u32_e32 v5, vcc, 0, v5, vcc
	v_cmp_gt_i32_e32 vcc, 31, v8
	v_cndmask_b32_e32 v9, v2, v5, vcc
	ds_read2_b32 v[5:6], v55 offset0:90 offset1:135
	v_cmp_ne_u32_e32 vcc, 0, v0
	v_cndmask_b32_e64 v0, 0, 1, vcc
	v_lshl_or_b32 v0, v0, 9, v2
	v_cmp_eq_u32_e32 vcc, s11, v8
	v_cndmask_b32_e32 v0, v9, v0, vcc
	v_lshrrev_b32_e32 v1, 16, v1
	s_waitcnt lgkmcnt(0)
	v_lshrrev_b32_e32 v9, 16, v5
	v_and_or_b32 v8, v1, s14, v0
	v_mul_f16_sdwa v0, v63, v9 dst_sel:DWORD dst_unused:UNUSED_PAD src0_sel:WORD_1 src1_sel:DWORD
	v_fma_f16 v0, v63, v5, v0
	v_cvt_f32_f16_e32 v0, v0
	v_and_b32_e32 v7, 0xffff, v7
	v_lshl_or_b32 v10, v8, 16, v7
	s_mul_i32 s2, s9, 45
	v_cvt_f64_f32_e32 v[0:1], v0
	s_mul_hi_u32 s3, s8, 45
	s_add_i32 s3, s3, s2
	s_mul_i32 s2, s8, 45
	v_mul_f64 v[7:8], v[0:1], s[12:13]
	s_lshl_b64 s[6:7], s[2:3], 2
	v_mov_b32_e32 v1, s7
	v_add_co_u32_e32 v3, vcc, s6, v3
	v_addc_co_u32_e32 v4, vcc, v4, v1, vcc
	global_store_dword v[3:4], v10, off
	v_and_or_b32 v0, v8, s15, v7
	v_cmp_ne_u32_e32 vcc, 0, v0
	v_cndmask_b32_e64 v0, 0, 1, vcc
	v_lshrrev_b32_e32 v7, 8, v8
	v_bfe_u32 v10, v8, 20, 11
	v_and_or_b32 v0, v7, s10, v0
	v_sub_u32_e32 v11, 0x3f1, v10
	v_or_b32_e32 v7, 0x1000, v0
	v_med3_i32 v11, v11, 0, 13
	v_lshrrev_b32_e32 v14, v11, v7
	v_lshlrev_b32_e32 v11, v11, v14
	v_mul_f16_sdwa v5, v63, v5 dst_sel:DWORD dst_unused:UNUSED_PAD src0_sel:WORD_1 src1_sel:DWORD
	v_cmp_ne_u32_e32 vcc, v11, v7
	v_fma_f16 v5, v63, v9, -v5
	v_cndmask_b32_e64 v7, 0, 1, vcc
	v_add_u32_e32 v11, 0xfffffc10, v10
	v_cvt_f32_f16_e32 v5, v5
	v_or_b32_e32 v7, v14, v7
	v_lshl_or_b32 v10, v11, 12, v0
	v_cmp_gt_i32_e32 vcc, 1, v11
	v_cndmask_b32_e32 v7, v10, v7, vcc
	v_and_b32_e32 v10, 7, v7
	v_cmp_lt_i32_e32 vcc, 5, v10
	v_cmp_eq_u32_e64 s[2:3], 3, v10
	v_cvt_f64_f32_e32 v[9:10], v5
	v_lshrrev_b32_e32 v7, 2, v7
	s_or_b64 vcc, s[2:3], vcc
	v_addc_co_u32_e32 v5, vcc, 0, v7, vcc
	v_mul_f64 v[9:10], v[9:10], s[12:13]
	v_cmp_gt_i32_e32 vcc, 31, v11
	v_cndmask_b32_e32 v5, v2, v5, vcc
	v_cmp_ne_u32_e32 vcc, 0, v0
	v_cndmask_b32_e64 v0, 0, 1, vcc
	v_lshl_or_b32 v0, v0, 9, v2
	v_cmp_eq_u32_e32 vcc, s11, v11
	v_cndmask_b32_e32 v0, v5, v0, vcc
	v_lshrrev_b32_e32 v5, 16, v8
	v_and_or_b32 v0, v5, s14, v0
	v_and_or_b32 v5, v10, s15, v9
	v_cmp_ne_u32_e32 vcc, 0, v5
	v_cndmask_b32_e64 v5, 0, 1, vcc
	v_lshrrev_b32_e32 v7, 8, v10
	v_bfe_u32 v8, v10, 20, 11
	v_and_or_b32 v5, v7, s10, v5
	v_sub_u32_e32 v9, 0x3f1, v8
	v_or_b32_e32 v7, 0x1000, v5
	v_med3_i32 v9, v9, 0, 13
	v_lshrrev_b32_e32 v11, v9, v7
	v_lshlrev_b32_e32 v9, v9, v11
	v_cmp_ne_u32_e32 vcc, v9, v7
	v_cndmask_b32_e64 v7, 0, 1, vcc
	v_add_u32_e32 v9, 0xfffffc10, v8
	v_or_b32_e32 v7, v11, v7
	v_lshl_or_b32 v8, v9, 12, v5
	v_cmp_gt_i32_e32 vcc, 1, v9
	v_cndmask_b32_e32 v7, v8, v7, vcc
	v_and_b32_e32 v8, 7, v7
	v_cmp_lt_i32_e32 vcc, 5, v8
	v_cmp_eq_u32_e64 s[2:3], 3, v8
	v_lshrrev_b32_e32 v7, 2, v7
	s_or_b64 vcc, s[2:3], vcc
	v_addc_co_u32_e32 v7, vcc, 0, v7, vcc
	v_cmp_gt_i32_e32 vcc, 31, v9
	v_lshrrev_b32_e32 v14, 16, v6
	v_cndmask_b32_e32 v11, v2, v7, vcc
	v_mul_f16_sdwa v7, v62, v14 dst_sel:DWORD dst_unused:UNUSED_PAD src0_sel:WORD_1 src1_sel:DWORD
	v_fma_f16 v7, v62, v6, v7
	v_cvt_f32_f16_e32 v7, v7
	v_cmp_ne_u32_e32 vcc, 0, v5
	v_cndmask_b32_e64 v5, 0, 1, vcc
	v_lshl_or_b32 v5, v5, 9, v2
	v_cvt_f64_f32_e32 v[7:8], v7
	v_cmp_eq_u32_e32 vcc, s11, v9
	v_cndmask_b32_e32 v5, v11, v5, vcc
	v_lshrrev_b32_e32 v9, 16, v10
	v_mul_f64 v[7:8], v[7:8], s[12:13]
	v_and_or_b32 v5, v9, s14, v5
	v_and_b32_e32 v0, 0xffff, v0
	v_add_co_u32_e32 v3, vcc, s6, v3
	v_lshl_or_b32 v0, v5, 16, v0
	v_addc_co_u32_e32 v4, vcc, v4, v1, vcc
	global_store_dword v[3:4], v0, off
	v_and_or_b32 v0, v8, s15, v7
	v_cmp_ne_u32_e32 vcc, 0, v0
	v_cndmask_b32_e64 v0, 0, 1, vcc
	v_lshrrev_b32_e32 v5, 8, v8
	v_bfe_u32 v7, v8, 20, 11
	v_and_or_b32 v0, v5, s10, v0
	v_sub_u32_e32 v9, 0x3f1, v7
	v_or_b32_e32 v5, 0x1000, v0
	v_med3_i32 v9, v9, 0, 13
	v_lshrrev_b32_e32 v10, v9, v5
	v_lshlrev_b32_e32 v9, v9, v10
	v_mul_f16_sdwa v6, v62, v6 dst_sel:DWORD dst_unused:UNUSED_PAD src0_sel:WORD_1 src1_sel:DWORD
	v_cmp_ne_u32_e32 vcc, v9, v5
	v_fma_f16 v6, v62, v14, -v6
	v_cndmask_b32_e64 v5, 0, 1, vcc
	v_add_u32_e32 v7, 0xfffffc10, v7
	v_cvt_f32_f16_e32 v6, v6
	v_or_b32_e32 v5, v10, v5
	v_lshl_or_b32 v9, v7, 12, v0
	v_cmp_gt_i32_e32 vcc, 1, v7
	v_cndmask_b32_e32 v5, v9, v5, vcc
	v_and_b32_e32 v9, 7, v5
	v_cmp_lt_i32_e32 vcc, 5, v9
	v_cmp_eq_u32_e64 s[2:3], 3, v9
	v_lshrrev_b32_e32 v9, 2, v5
	v_cvt_f64_f32_e32 v[5:6], v6
	s_or_b64 vcc, s[2:3], vcc
	v_addc_co_u32_e32 v9, vcc, 0, v9, vcc
	v_mul_f64 v[5:6], v[5:6], s[12:13]
	v_cmp_gt_i32_e32 vcc, 31, v7
	v_cndmask_b32_e32 v9, v2, v9, vcc
	v_cmp_ne_u32_e32 vcc, 0, v0
	v_cndmask_b32_e64 v0, 0, 1, vcc
	v_lshl_or_b32 v0, v0, 9, v2
	v_cmp_eq_u32_e32 vcc, s11, v7
	v_cndmask_b32_e32 v0, v9, v0, vcc
	v_and_or_b32 v5, v6, s15, v5
	v_lshrrev_b32_e32 v7, 16, v8
	v_cmp_ne_u32_e32 vcc, 0, v5
	v_and_or_b32 v0, v7, s14, v0
	v_cndmask_b32_e64 v5, 0, 1, vcc
	v_lshrrev_b32_e32 v7, 8, v6
	v_bfe_u32 v8, v6, 20, 11
	v_and_or_b32 v5, v7, s10, v5
	v_sub_u32_e32 v9, 0x3f1, v8
	v_or_b32_e32 v7, 0x1000, v5
	v_med3_i32 v9, v9, 0, 13
	v_lshrrev_b32_e32 v10, v9, v7
	v_lshlrev_b32_e32 v9, v9, v10
	v_cmp_ne_u32_e32 vcc, v9, v7
	v_cndmask_b32_e64 v7, 0, 1, vcc
	v_add_u32_e32 v11, 0xfffffc10, v8
	v_or_b32_e32 v7, v10, v7
	v_lshl_or_b32 v8, v11, 12, v5
	v_cmp_gt_i32_e32 vcc, 1, v11
	v_cndmask_b32_e32 v7, v8, v7, vcc
	v_and_b32_e32 v8, 7, v7
	v_cmp_lt_i32_e32 vcc, 5, v8
	v_cmp_eq_u32_e64 s[2:3], 3, v8
	v_lshrrev_b32_e32 v9, 2, v7
	ds_read2_b32 v[7:8], v55 offset0:180 offset1:225
	s_or_b64 vcc, s[2:3], vcc
	v_addc_co_u32_e32 v9, vcc, 0, v9, vcc
	v_cmp_gt_i32_e32 vcc, 31, v11
	s_waitcnt lgkmcnt(0)
	v_lshrrev_b32_e32 v16, 16, v7
	v_cndmask_b32_e32 v14, v2, v9, vcc
	v_mul_f16_sdwa v9, v61, v16 dst_sel:DWORD dst_unused:UNUSED_PAD src0_sel:WORD_1 src1_sel:DWORD
	v_fma_f16 v9, v61, v7, v9
	v_cvt_f32_f16_e32 v9, v9
	v_cmp_ne_u32_e32 vcc, 0, v5
	v_cndmask_b32_e64 v5, 0, 1, vcc
	v_lshl_or_b32 v5, v5, 9, v2
	v_cvt_f64_f32_e32 v[9:10], v9
	v_cmp_eq_u32_e32 vcc, s11, v11
	v_cndmask_b32_e32 v5, v14, v5, vcc
	v_lshrrev_b32_e32 v6, 16, v6
	v_and_or_b32 v11, v6, s14, v5
	v_mul_f64 v[5:6], v[9:10], s[12:13]
	v_and_b32_e32 v0, 0xffff, v0
	v_add_co_u32_e32 v3, vcc, s6, v3
	v_lshl_or_b32 v0, v11, 16, v0
	v_addc_co_u32_e32 v4, vcc, v4, v1, vcc
	global_store_dword v[3:4], v0, off
	v_and_or_b32 v0, v6, s15, v5
	v_cmp_ne_u32_e32 vcc, 0, v0
	v_cndmask_b32_e64 v0, 0, 1, vcc
	v_lshrrev_b32_e32 v5, 8, v6
	v_bfe_u32 v9, v6, 20, 11
	v_and_or_b32 v0, v5, s10, v0
	v_sub_u32_e32 v10, 0x3f1, v9
	v_or_b32_e32 v5, 0x1000, v0
	v_med3_i32 v10, v10, 0, 13
	v_lshrrev_b32_e32 v11, v10, v5
	v_lshlrev_b32_e32 v10, v10, v11
	v_cmp_ne_u32_e32 vcc, v10, v5
	v_mul_f16_sdwa v7, v61, v7 dst_sel:DWORD dst_unused:UNUSED_PAD src0_sel:WORD_1 src1_sel:DWORD
	v_cndmask_b32_e64 v5, 0, 1, vcc
	v_fma_f16 v7, v61, v16, -v7
	v_or_b32_e32 v5, v11, v5
	v_add_u32_e32 v11, 0xfffffc10, v9
	v_cvt_f32_f16_e32 v7, v7
	v_lshl_or_b32 v9, v11, 12, v0
	v_cmp_gt_i32_e32 vcc, 1, v11
	v_cndmask_b32_e32 v5, v9, v5, vcc
	v_and_b32_e32 v9, 7, v5
	v_cmp_lt_i32_e32 vcc, 5, v9
	v_cmp_eq_u32_e64 s[2:3], 3, v9
	v_cvt_f64_f32_e32 v[9:10], v7
	v_lshrrev_b32_e32 v5, 2, v5
	s_or_b64 vcc, s[2:3], vcc
	v_addc_co_u32_e32 v5, vcc, 0, v5, vcc
	v_mul_f64 v[9:10], v[9:10], s[12:13]
	v_cmp_gt_i32_e32 vcc, 31, v11
	v_cndmask_b32_e32 v5, v2, v5, vcc
	v_cmp_ne_u32_e32 vcc, 0, v0
	v_cndmask_b32_e64 v0, 0, 1, vcc
	v_lshl_or_b32 v0, v0, 9, v2
	v_cmp_eq_u32_e32 vcc, s11, v11
	v_cndmask_b32_e32 v0, v5, v0, vcc
	v_lshrrev_b32_e32 v5, 16, v6
	v_and_or_b32 v0, v5, s14, v0
	v_and_or_b32 v5, v10, s15, v9
	v_cmp_ne_u32_e32 vcc, 0, v5
	v_cndmask_b32_e64 v5, 0, 1, vcc
	v_lshrrev_b32_e32 v6, 8, v10
	v_bfe_u32 v7, v10, 20, 11
	v_and_or_b32 v5, v6, s10, v5
	v_sub_u32_e32 v9, 0x3f1, v7
	v_or_b32_e32 v6, 0x1000, v5
	v_med3_i32 v9, v9, 0, 13
	v_lshrrev_b32_e32 v11, v9, v6
	v_lshlrev_b32_e32 v9, v9, v11
	v_cmp_ne_u32_e32 vcc, v9, v6
	v_cndmask_b32_e64 v6, 0, 1, vcc
	v_add_u32_e32 v7, 0xfffffc10, v7
	v_or_b32_e32 v6, v11, v6
	v_lshl_or_b32 v9, v7, 12, v5
	v_cmp_gt_i32_e32 vcc, 1, v7
	v_cndmask_b32_e32 v6, v9, v6, vcc
	v_and_b32_e32 v9, 7, v6
	v_cmp_lt_i32_e32 vcc, 5, v9
	v_cmp_eq_u32_e64 s[2:3], 3, v9
	v_lshrrev_b32_e32 v6, 2, v6
	s_or_b64 vcc, s[2:3], vcc
	v_addc_co_u32_e32 v6, vcc, 0, v6, vcc
	v_cmp_gt_i32_e32 vcc, 31, v7
	v_lshrrev_b32_e32 v11, 16, v8
	v_cndmask_b32_e32 v9, v2, v6, vcc
	v_mul_f16_sdwa v6, v60, v11 dst_sel:DWORD dst_unused:UNUSED_PAD src0_sel:WORD_1 src1_sel:DWORD
	v_fma_f16 v6, v60, v8, v6
	v_cvt_f32_f16_e32 v6, v6
	v_cmp_ne_u32_e32 vcc, 0, v5
	v_cndmask_b32_e64 v5, 0, 1, vcc
	v_lshl_or_b32 v14, v5, 9, v2
	v_cvt_f64_f32_e32 v[5:6], v6
	v_cmp_eq_u32_e32 vcc, s11, v7
	v_cndmask_b32_e32 v7, v9, v14, vcc
	v_lshrrev_b32_e32 v9, 16, v10
	v_mul_f64 v[5:6], v[5:6], s[12:13]
	v_and_or_b32 v7, v9, s14, v7
	v_and_b32_e32 v0, 0xffff, v0
	v_add_co_u32_e32 v3, vcc, s6, v3
	v_lshl_or_b32 v0, v7, 16, v0
	v_addc_co_u32_e32 v4, vcc, v4, v1, vcc
	global_store_dword v[3:4], v0, off
	v_and_or_b32 v0, v6, s15, v5
	v_cmp_ne_u32_e32 vcc, 0, v0
	v_cndmask_b32_e64 v0, 0, 1, vcc
	v_lshrrev_b32_e32 v5, 8, v6
	v_bfe_u32 v7, v6, 20, 11
	v_and_or_b32 v0, v5, s10, v0
	v_sub_u32_e32 v9, 0x3f1, v7
	v_or_b32_e32 v5, 0x1000, v0
	v_med3_i32 v9, v9, 0, 13
	v_lshrrev_b32_e32 v10, v9, v5
	v_lshlrev_b32_e32 v9, v9, v10
	v_mul_f16_sdwa v8, v60, v8 dst_sel:DWORD dst_unused:UNUSED_PAD src0_sel:WORD_1 src1_sel:DWORD
	v_cmp_ne_u32_e32 vcc, v9, v5
	v_fma_f16 v8, v60, v11, -v8
	v_cndmask_b32_e64 v5, 0, 1, vcc
	v_add_u32_e32 v9, 0xfffffc10, v7
	v_cvt_f32_f16_e32 v8, v8
	v_or_b32_e32 v5, v10, v5
	v_lshl_or_b32 v7, v9, 12, v0
	v_cmp_gt_i32_e32 vcc, 1, v9
	v_cndmask_b32_e32 v5, v7, v5, vcc
	v_and_b32_e32 v7, 7, v5
	v_cmp_lt_i32_e32 vcc, 5, v7
	v_cmp_eq_u32_e64 s[2:3], 3, v7
	v_cvt_f64_f32_e32 v[7:8], v8
	v_lshrrev_b32_e32 v5, 2, v5
	s_or_b64 vcc, s[2:3], vcc
	v_addc_co_u32_e32 v5, vcc, 0, v5, vcc
	v_mul_f64 v[7:8], v[7:8], s[12:13]
	v_cmp_gt_i32_e32 vcc, 31, v9
	v_cndmask_b32_e32 v5, v2, v5, vcc
	v_cmp_ne_u32_e32 vcc, 0, v0
	v_cndmask_b32_e64 v0, 0, 1, vcc
	v_lshl_or_b32 v0, v0, 9, v2
	v_cmp_eq_u32_e32 vcc, s11, v9
	v_cndmask_b32_e32 v0, v5, v0, vcc
	v_lshrrev_b32_e32 v5, 16, v6
	v_and_or_b32 v0, v5, s14, v0
	v_and_or_b32 v5, v8, s15, v7
	v_cmp_ne_u32_e32 vcc, 0, v5
	v_cndmask_b32_e64 v5, 0, 1, vcc
	v_lshrrev_b32_e32 v6, 8, v8
	v_and_or_b32 v7, v6, s10, v5
	v_bfe_u32 v6, v8, 20, 11
	v_sub_u32_e32 v9, 0x3f1, v6
	v_or_b32_e32 v5, 0x1000, v7
	v_med3_i32 v9, v9, 0, 13
	v_lshrrev_b32_e32 v10, v9, v5
	v_lshlrev_b32_e32 v9, v9, v10
	v_cmp_ne_u32_e32 vcc, v9, v5
	v_cndmask_b32_e64 v5, 0, 1, vcc
	v_add_u32_e32 v11, 0xfffffc10, v6
	v_or_b32_e32 v5, v10, v5
	v_lshl_or_b32 v6, v11, 12, v7
	v_cmp_gt_i32_e32 vcc, 1, v11
	v_cndmask_b32_e32 v5, v6, v5, vcc
	v_and_b32_e32 v6, 7, v5
	v_cmp_lt_i32_e32 vcc, 5, v6
	v_cmp_eq_u32_e64 s[2:3], 3, v6
	v_lshrrev_b32_e32 v9, 2, v5
	ds_read2_b32 v[5:6], v15 offset0:14 offset1:59
	s_or_b64 vcc, s[2:3], vcc
	v_addc_co_u32_e32 v9, vcc, 0, v9, vcc
	v_cmp_gt_i32_e32 vcc, 31, v11
	s_waitcnt lgkmcnt(0)
	v_lshrrev_b32_e32 v16, 16, v5
	v_cndmask_b32_e32 v14, v2, v9, vcc
	v_mul_f16_sdwa v9, v59, v16 dst_sel:DWORD dst_unused:UNUSED_PAD src0_sel:WORD_1 src1_sel:DWORD
	v_fma_f16 v9, v59, v5, v9
	v_cvt_f32_f16_e32 v9, v9
	v_cmp_ne_u32_e32 vcc, 0, v7
	v_cndmask_b32_e64 v7, 0, 1, vcc
	v_lshl_or_b32 v7, v7, 9, v2
	v_cvt_f64_f32_e32 v[9:10], v9
	v_cmp_eq_u32_e32 vcc, s11, v11
	v_cndmask_b32_e32 v7, v14, v7, vcc
	v_lshrrev_b32_e32 v8, 16, v8
	v_and_or_b32 v11, v8, s14, v7
	v_mul_f64 v[7:8], v[9:10], s[12:13]
	v_and_b32_e32 v0, 0xffff, v0
	v_add_co_u32_e32 v3, vcc, s6, v3
	v_lshl_or_b32 v0, v11, 16, v0
	v_addc_co_u32_e32 v4, vcc, v4, v1, vcc
	global_store_dword v[3:4], v0, off
	v_and_or_b32 v0, v8, s15, v7
	v_cmp_ne_u32_e32 vcc, 0, v0
	v_cndmask_b32_e64 v0, 0, 1, vcc
	v_lshrrev_b32_e32 v7, 8, v8
	v_bfe_u32 v9, v8, 20, 11
	v_and_or_b32 v0, v7, s10, v0
	v_sub_u32_e32 v10, 0x3f1, v9
	v_or_b32_e32 v7, 0x1000, v0
	v_med3_i32 v10, v10, 0, 13
	v_lshrrev_b32_e32 v11, v10, v7
	v_lshlrev_b32_e32 v10, v10, v11
	v_cmp_ne_u32_e32 vcc, v10, v7
	v_mul_f16_sdwa v5, v59, v5 dst_sel:DWORD dst_unused:UNUSED_PAD src0_sel:WORD_1 src1_sel:DWORD
	v_cndmask_b32_e64 v7, 0, 1, vcc
	v_fma_f16 v5, v59, v16, -v5
	v_or_b32_e32 v7, v11, v7
	v_add_u32_e32 v11, 0xfffffc10, v9
	v_cvt_f32_f16_e32 v5, v5
	v_lshl_or_b32 v9, v11, 12, v0
	v_cmp_gt_i32_e32 vcc, 1, v11
	v_cndmask_b32_e32 v7, v9, v7, vcc
	v_and_b32_e32 v9, 7, v7
	v_cmp_lt_i32_e32 vcc, 5, v9
	v_cmp_eq_u32_e64 s[2:3], 3, v9
	v_cvt_f64_f32_e32 v[9:10], v5
	v_lshrrev_b32_e32 v7, 2, v7
	s_or_b64 vcc, s[2:3], vcc
	v_addc_co_u32_e32 v5, vcc, 0, v7, vcc
	v_mul_f64 v[9:10], v[9:10], s[12:13]
	v_cmp_gt_i32_e32 vcc, 31, v11
	v_cndmask_b32_e32 v5, v2, v5, vcc
	v_cmp_ne_u32_e32 vcc, 0, v0
	v_cndmask_b32_e64 v0, 0, 1, vcc
	v_lshl_or_b32 v0, v0, 9, v2
	v_cmp_eq_u32_e32 vcc, s11, v11
	v_cndmask_b32_e32 v0, v5, v0, vcc
	v_lshrrev_b32_e32 v5, 16, v8
	v_and_or_b32 v0, v5, s14, v0
	v_and_or_b32 v5, v10, s15, v9
	v_cmp_ne_u32_e32 vcc, 0, v5
	v_cndmask_b32_e64 v5, 0, 1, vcc
	v_lshrrev_b32_e32 v7, 8, v10
	v_bfe_u32 v8, v10, 20, 11
	v_and_or_b32 v5, v7, s10, v5
	v_sub_u32_e32 v9, 0x3f1, v8
	v_or_b32_e32 v7, 0x1000, v5
	v_med3_i32 v9, v9, 0, 13
	v_lshrrev_b32_e32 v11, v9, v7
	v_lshlrev_b32_e32 v9, v9, v11
	v_cmp_ne_u32_e32 vcc, v9, v7
	v_cndmask_b32_e64 v7, 0, 1, vcc
	v_add_u32_e32 v9, 0xfffffc10, v8
	v_or_b32_e32 v7, v11, v7
	v_lshl_or_b32 v8, v9, 12, v5
	v_cmp_gt_i32_e32 vcc, 1, v9
	v_cndmask_b32_e32 v7, v8, v7, vcc
	v_and_b32_e32 v8, 7, v7
	v_cmp_lt_i32_e32 vcc, 5, v8
	v_cmp_eq_u32_e64 s[2:3], 3, v8
	v_lshrrev_b32_e32 v7, 2, v7
	s_or_b64 vcc, s[2:3], vcc
	v_addc_co_u32_e32 v7, vcc, 0, v7, vcc
	v_cmp_gt_i32_e32 vcc, 31, v9
	v_lshrrev_b32_e32 v14, 16, v6
	v_cndmask_b32_e32 v11, v2, v7, vcc
	v_mul_f16_sdwa v7, v58, v14 dst_sel:DWORD dst_unused:UNUSED_PAD src0_sel:WORD_1 src1_sel:DWORD
	v_fma_f16 v7, v58, v6, v7
	v_cvt_f32_f16_e32 v7, v7
	v_cmp_ne_u32_e32 vcc, 0, v5
	v_cndmask_b32_e64 v5, 0, 1, vcc
	v_lshl_or_b32 v5, v5, 9, v2
	v_cvt_f64_f32_e32 v[7:8], v7
	v_cmp_eq_u32_e32 vcc, s11, v9
	v_cndmask_b32_e32 v5, v11, v5, vcc
	v_lshrrev_b32_e32 v9, 16, v10
	v_mul_f64 v[7:8], v[7:8], s[12:13]
	v_and_or_b32 v5, v9, s14, v5
	v_and_b32_e32 v0, 0xffff, v0
	v_add_co_u32_e32 v3, vcc, s6, v3
	v_lshl_or_b32 v0, v5, 16, v0
	v_addc_co_u32_e32 v4, vcc, v4, v1, vcc
	global_store_dword v[3:4], v0, off
	v_and_or_b32 v0, v8, s15, v7
	v_cmp_ne_u32_e32 vcc, 0, v0
	v_cndmask_b32_e64 v0, 0, 1, vcc
	v_lshrrev_b32_e32 v5, 8, v8
	v_bfe_u32 v7, v8, 20, 11
	v_and_or_b32 v0, v5, s10, v0
	v_sub_u32_e32 v9, 0x3f1, v7
	v_or_b32_e32 v5, 0x1000, v0
	v_med3_i32 v9, v9, 0, 13
	v_lshrrev_b32_e32 v10, v9, v5
	v_lshlrev_b32_e32 v9, v9, v10
	v_mul_f16_sdwa v6, v58, v6 dst_sel:DWORD dst_unused:UNUSED_PAD src0_sel:WORD_1 src1_sel:DWORD
	v_cmp_ne_u32_e32 vcc, v9, v5
	v_fma_f16 v6, v58, v14, -v6
	v_cndmask_b32_e64 v5, 0, 1, vcc
	v_add_u32_e32 v7, 0xfffffc10, v7
	v_cvt_f32_f16_e32 v6, v6
	v_or_b32_e32 v5, v10, v5
	v_lshl_or_b32 v9, v7, 12, v0
	v_cmp_gt_i32_e32 vcc, 1, v7
	v_cndmask_b32_e32 v5, v9, v5, vcc
	v_and_b32_e32 v9, 7, v5
	v_cmp_lt_i32_e32 vcc, 5, v9
	v_cmp_eq_u32_e64 s[2:3], 3, v9
	v_lshrrev_b32_e32 v9, 2, v5
	v_cvt_f64_f32_e32 v[5:6], v6
	s_or_b64 vcc, s[2:3], vcc
	v_addc_co_u32_e32 v9, vcc, 0, v9, vcc
	v_mul_f64 v[5:6], v[5:6], s[12:13]
	v_cmp_gt_i32_e32 vcc, 31, v7
	v_cndmask_b32_e32 v9, v2, v9, vcc
	v_cmp_ne_u32_e32 vcc, 0, v0
	v_cndmask_b32_e64 v0, 0, 1, vcc
	v_lshl_or_b32 v0, v0, 9, v2
	v_cmp_eq_u32_e32 vcc, s11, v7
	v_cndmask_b32_e32 v0, v9, v0, vcc
	v_and_or_b32 v5, v6, s15, v5
	v_lshrrev_b32_e32 v7, 16, v8
	v_cmp_ne_u32_e32 vcc, 0, v5
	v_and_or_b32 v0, v7, s14, v0
	v_cndmask_b32_e64 v5, 0, 1, vcc
	v_lshrrev_b32_e32 v7, 8, v6
	v_bfe_u32 v8, v6, 20, 11
	v_and_or_b32 v5, v7, s10, v5
	v_sub_u32_e32 v9, 0x3f1, v8
	v_or_b32_e32 v7, 0x1000, v5
	v_med3_i32 v9, v9, 0, 13
	v_lshrrev_b32_e32 v10, v9, v7
	v_lshlrev_b32_e32 v9, v9, v10
	v_cmp_ne_u32_e32 vcc, v9, v7
	v_cndmask_b32_e64 v7, 0, 1, vcc
	v_add_u32_e32 v11, 0xfffffc10, v8
	v_or_b32_e32 v7, v10, v7
	v_lshl_or_b32 v8, v11, 12, v5
	v_cmp_gt_i32_e32 vcc, 1, v11
	v_cndmask_b32_e32 v7, v8, v7, vcc
	v_and_b32_e32 v8, 7, v7
	v_cmp_lt_i32_e32 vcc, 5, v8
	v_cmp_eq_u32_e64 s[2:3], 3, v8
	v_lshrrev_b32_e32 v9, 2, v7
	ds_read2_b32 v[7:8], v15 offset0:104 offset1:149
	s_or_b64 vcc, s[2:3], vcc
	v_addc_co_u32_e32 v9, vcc, 0, v9, vcc
	v_cmp_gt_i32_e32 vcc, 31, v11
	s_waitcnt lgkmcnt(0)
	v_lshrrev_b32_e32 v16, 16, v7
	v_cndmask_b32_e32 v14, v2, v9, vcc
	v_mul_f16_sdwa v9, v57, v16 dst_sel:DWORD dst_unused:UNUSED_PAD src0_sel:WORD_1 src1_sel:DWORD
	v_fma_f16 v9, v57, v7, v9
	v_cvt_f32_f16_e32 v9, v9
	v_cmp_ne_u32_e32 vcc, 0, v5
	v_cndmask_b32_e64 v5, 0, 1, vcc
	v_lshl_or_b32 v5, v5, 9, v2
	v_cvt_f64_f32_e32 v[9:10], v9
	v_cmp_eq_u32_e32 vcc, s11, v11
	v_cndmask_b32_e32 v5, v14, v5, vcc
	v_lshrrev_b32_e32 v6, 16, v6
	v_and_or_b32 v11, v6, s14, v5
	v_mul_f64 v[5:6], v[9:10], s[12:13]
	v_and_b32_e32 v0, 0xffff, v0
	v_add_co_u32_e32 v3, vcc, s6, v3
	v_lshl_or_b32 v0, v11, 16, v0
	v_addc_co_u32_e32 v4, vcc, v4, v1, vcc
	global_store_dword v[3:4], v0, off
	v_and_or_b32 v0, v6, s15, v5
	v_cmp_ne_u32_e32 vcc, 0, v0
	v_cndmask_b32_e64 v0, 0, 1, vcc
	v_lshrrev_b32_e32 v5, 8, v6
	v_bfe_u32 v9, v6, 20, 11
	v_and_or_b32 v0, v5, s10, v0
	v_sub_u32_e32 v10, 0x3f1, v9
	v_or_b32_e32 v5, 0x1000, v0
	v_med3_i32 v10, v10, 0, 13
	v_lshrrev_b32_e32 v11, v10, v5
	v_lshlrev_b32_e32 v10, v10, v11
	v_cmp_ne_u32_e32 vcc, v10, v5
	v_mul_f16_sdwa v7, v57, v7 dst_sel:DWORD dst_unused:UNUSED_PAD src0_sel:WORD_1 src1_sel:DWORD
	v_cndmask_b32_e64 v5, 0, 1, vcc
	v_fma_f16 v7, v57, v16, -v7
	v_or_b32_e32 v5, v11, v5
	v_add_u32_e32 v11, 0xfffffc10, v9
	v_cvt_f32_f16_e32 v7, v7
	v_lshl_or_b32 v9, v11, 12, v0
	v_cmp_gt_i32_e32 vcc, 1, v11
	v_cndmask_b32_e32 v5, v9, v5, vcc
	v_and_b32_e32 v9, 7, v5
	v_cmp_lt_i32_e32 vcc, 5, v9
	v_cmp_eq_u32_e64 s[2:3], 3, v9
	v_cvt_f64_f32_e32 v[9:10], v7
	v_lshrrev_b32_e32 v5, 2, v5
	s_or_b64 vcc, s[2:3], vcc
	v_addc_co_u32_e32 v5, vcc, 0, v5, vcc
	v_mul_f64 v[9:10], v[9:10], s[12:13]
	v_cmp_gt_i32_e32 vcc, 31, v11
	v_cndmask_b32_e32 v5, v2, v5, vcc
	v_cmp_ne_u32_e32 vcc, 0, v0
	v_cndmask_b32_e64 v0, 0, 1, vcc
	v_lshl_or_b32 v0, v0, 9, v2
	v_cmp_eq_u32_e32 vcc, s11, v11
	v_cndmask_b32_e32 v0, v5, v0, vcc
	v_lshrrev_b32_e32 v5, 16, v6
	v_and_or_b32 v0, v5, s14, v0
	v_and_or_b32 v5, v10, s15, v9
	v_cmp_ne_u32_e32 vcc, 0, v5
	v_cndmask_b32_e64 v5, 0, 1, vcc
	v_lshrrev_b32_e32 v6, 8, v10
	v_bfe_u32 v7, v10, 20, 11
	v_and_or_b32 v5, v6, s10, v5
	v_sub_u32_e32 v9, 0x3f1, v7
	v_or_b32_e32 v6, 0x1000, v5
	v_med3_i32 v9, v9, 0, 13
	v_lshrrev_b32_e32 v11, v9, v6
	v_lshlrev_b32_e32 v9, v9, v11
	v_cmp_ne_u32_e32 vcc, v9, v6
	v_cndmask_b32_e64 v6, 0, 1, vcc
	v_add_u32_e32 v7, 0xfffffc10, v7
	v_or_b32_e32 v6, v11, v6
	v_lshl_or_b32 v9, v7, 12, v5
	v_cmp_gt_i32_e32 vcc, 1, v7
	v_cndmask_b32_e32 v6, v9, v6, vcc
	v_and_b32_e32 v9, 7, v6
	v_cmp_lt_i32_e32 vcc, 5, v9
	v_cmp_eq_u32_e64 s[2:3], 3, v9
	v_lshrrev_b32_e32 v6, 2, v6
	s_or_b64 vcc, s[2:3], vcc
	v_addc_co_u32_e32 v6, vcc, 0, v6, vcc
	v_cmp_gt_i32_e32 vcc, 31, v7
	v_lshrrev_b32_e32 v11, 16, v8
	v_cndmask_b32_e32 v9, v2, v6, vcc
	v_mul_f16_sdwa v6, v56, v11 dst_sel:DWORD dst_unused:UNUSED_PAD src0_sel:WORD_1 src1_sel:DWORD
	v_fma_f16 v6, v56, v8, v6
	v_cvt_f32_f16_e32 v6, v6
	v_cmp_ne_u32_e32 vcc, 0, v5
	v_cndmask_b32_e64 v5, 0, 1, vcc
	v_lshl_or_b32 v14, v5, 9, v2
	v_cvt_f64_f32_e32 v[5:6], v6
	v_cmp_eq_u32_e32 vcc, s11, v7
	v_cndmask_b32_e32 v7, v9, v14, vcc
	v_lshrrev_b32_e32 v9, 16, v10
	v_mul_f64 v[5:6], v[5:6], s[12:13]
	v_and_or_b32 v7, v9, s14, v7
	v_and_b32_e32 v0, 0xffff, v0
	v_add_co_u32_e32 v3, vcc, s6, v3
	v_lshl_or_b32 v0, v7, 16, v0
	v_addc_co_u32_e32 v4, vcc, v4, v1, vcc
	global_store_dword v[3:4], v0, off
	v_and_or_b32 v0, v6, s15, v5
	v_cmp_ne_u32_e32 vcc, 0, v0
	v_cndmask_b32_e64 v0, 0, 1, vcc
	v_lshrrev_b32_e32 v5, 8, v6
	v_bfe_u32 v7, v6, 20, 11
	v_and_or_b32 v0, v5, s10, v0
	v_sub_u32_e32 v9, 0x3f1, v7
	v_or_b32_e32 v5, 0x1000, v0
	v_med3_i32 v9, v9, 0, 13
	v_lshrrev_b32_e32 v10, v9, v5
	v_lshlrev_b32_e32 v9, v9, v10
	v_mul_f16_sdwa v8, v56, v8 dst_sel:DWORD dst_unused:UNUSED_PAD src0_sel:WORD_1 src1_sel:DWORD
	v_cmp_ne_u32_e32 vcc, v9, v5
	v_fma_f16 v8, v56, v11, -v8
	v_cndmask_b32_e64 v5, 0, 1, vcc
	v_add_u32_e32 v9, 0xfffffc10, v7
	v_cvt_f32_f16_e32 v8, v8
	v_or_b32_e32 v5, v10, v5
	v_lshl_or_b32 v7, v9, 12, v0
	v_cmp_gt_i32_e32 vcc, 1, v9
	v_cndmask_b32_e32 v5, v7, v5, vcc
	v_and_b32_e32 v7, 7, v5
	v_cmp_lt_i32_e32 vcc, 5, v7
	v_cmp_eq_u32_e64 s[2:3], 3, v7
	v_cvt_f64_f32_e32 v[7:8], v8
	v_lshrrev_b32_e32 v5, 2, v5
	s_or_b64 vcc, s[2:3], vcc
	v_addc_co_u32_e32 v5, vcc, 0, v5, vcc
	v_mul_f64 v[7:8], v[7:8], s[12:13]
	v_cmp_gt_i32_e32 vcc, 31, v9
	v_cndmask_b32_e32 v5, v2, v5, vcc
	v_cmp_ne_u32_e32 vcc, 0, v0
	v_cndmask_b32_e64 v0, 0, 1, vcc
	v_lshl_or_b32 v0, v0, 9, v2
	v_cmp_eq_u32_e32 vcc, s11, v9
	v_cndmask_b32_e32 v0, v5, v0, vcc
	v_lshrrev_b32_e32 v5, 16, v6
	v_and_or_b32 v0, v5, s14, v0
	v_and_or_b32 v5, v8, s15, v7
	v_cmp_ne_u32_e32 vcc, 0, v5
	v_cndmask_b32_e64 v5, 0, 1, vcc
	v_lshrrev_b32_e32 v6, 8, v8
	v_bfe_u32 v7, v8, 20, 11
	v_and_or_b32 v5, v6, s10, v5
	v_sub_u32_e32 v9, 0x3f1, v7
	v_or_b32_e32 v6, 0x1000, v5
	v_med3_i32 v9, v9, 0, 13
	v_lshrrev_b32_e32 v10, v9, v6
	v_lshlrev_b32_e32 v9, v9, v10
	v_cmp_ne_u32_e32 vcc, v9, v6
	v_cndmask_b32_e64 v6, 0, 1, vcc
	v_add_u32_e32 v7, 0xfffffc10, v7
	v_or_b32_e32 v6, v10, v6
	v_lshl_or_b32 v9, v7, 12, v5
	v_cmp_gt_i32_e32 vcc, 1, v7
	v_cndmask_b32_e32 v6, v9, v6, vcc
	v_and_b32_e32 v9, 7, v6
	v_cmp_lt_i32_e32 vcc, 5, v9
	v_cmp_eq_u32_e64 s[2:3], 3, v9
	v_lshrrev_b32_e32 v6, 2, v6
	s_or_b64 vcc, s[2:3], vcc
	v_addc_co_u32_e32 v6, vcc, 0, v6, vcc
	v_cmp_gt_i32_e32 vcc, 31, v7
	v_cndmask_b32_e32 v6, v2, v6, vcc
	v_cmp_ne_u32_e32 vcc, 0, v5
	v_cndmask_b32_e64 v5, 0, 1, vcc
	v_lshl_or_b32 v5, v5, 9, v2
	v_cmp_eq_u32_e32 vcc, s11, v7
	v_cndmask_b32_e32 v5, v6, v5, vcc
	v_lshrrev_b32_e32 v6, 16, v8
	v_and_or_b32 v5, v6, s14, v5
	v_and_b32_e32 v0, 0xffff, v0
	v_lshl_or_b32 v5, v5, 16, v0
	v_add_co_u32_e32 v0, vcc, s6, v3
	v_addc_co_u32_e32 v1, vcc, v4, v1, vcc
	global_store_dword v[0:1], v5, off
	s_and_b64 exec, exec, s[0:1]
	s_cbranch_execz .LBB0_15
; %bb.14:
	global_load_dword v5, v[12:13], off offset:120
	ds_read2_b32 v[3:4], v68 offset0:30 offset1:120
	s_waitcnt lgkmcnt(0)
	v_lshrrev_b32_e32 v6, 16, v3
	s_waitcnt vmcnt(0)
	v_mul_f16_sdwa v7, v6, v5 dst_sel:DWORD dst_unused:UNUSED_PAD src0_sel:DWORD src1_sel:WORD_1
	v_fma_f16 v7, v3, v5, v7
	v_mul_f16_sdwa v3, v3, v5 dst_sel:DWORD dst_unused:UNUSED_PAD src0_sel:DWORD src1_sel:WORD_1
	v_cvt_f32_f16_e32 v7, v7
	v_fma_f16 v3, v5, v6, -v3
	v_cvt_f32_f16_e32 v3, v3
	v_cvt_f64_f32_e32 v[5:6], v7
	v_cvt_f64_f32_e32 v[7:8], v3
	v_mov_b32_e32 v3, 0xfffffa24
	v_mul_f64 v[5:6], v[5:6], s[12:13]
	v_mad_u64_u32 v[9:10], s[0:1], s8, v3, v[0:1]
	v_mul_f64 v[0:1], v[7:8], s[12:13]
	s_mul_i32 s0, s9, 0xfffffa24
	s_sub_i32 s0, s0, s8
	v_add_u32_e32 v10, s0, v10
	v_and_or_b32 v3, v6, s15, v5
	v_cmp_ne_u32_e32 vcc, 0, v3
	v_lshrrev_b32_e32 v5, 8, v6
	v_and_or_b32 v0, v1, s15, v0
	v_bfe_u32 v7, v6, 20, 11
	v_cndmask_b32_e64 v3, 0, 1, vcc
	v_cmp_ne_u32_e32 vcc, 0, v0
	v_lshrrev_b32_e32 v8, 8, v1
	v_bfe_u32 v11, v1, 20, 11
	v_sub_u32_e32 v14, 0x3f1, v7
	v_cndmask_b32_e64 v0, 0, 1, vcc
	v_and_or_b32 v3, v5, s10, v3
	v_sub_u32_e32 v16, 0x3f1, v11
	v_med3_i32 v5, v14, 0, 13
	v_and_or_b32 v0, v8, s10, v0
	v_or_b32_e32 v14, 0x1000, v3
	v_add_u32_e32 v7, 0xfffffc10, v7
	v_med3_i32 v8, v16, 0, 13
	v_cmp_ne_u32_e32 vcc, 0, v3
	v_or_b32_e32 v17, 0x1000, v0
	v_lshrrev_b32_e32 v19, v5, v14
	v_add_u32_e32 v11, 0xfffffc10, v11
	v_lshl_or_b32 v16, v7, 12, v3
	v_cndmask_b32_e64 v3, 0, 1, vcc
	v_cmp_ne_u32_e32 vcc, 0, v0
	v_lshrrev_b32_e32 v20, v8, v17
	v_lshlrev_b32_e32 v5, v5, v19
	v_lshl_or_b32 v18, v11, 12, v0
	v_cndmask_b32_e64 v0, 0, 1, vcc
	v_lshlrev_b32_e32 v8, v8, v20
	v_cmp_ne_u32_e32 vcc, v5, v14
	v_cndmask_b32_e64 v5, 0, 1, vcc
	v_cmp_ne_u32_e32 vcc, v8, v17
	v_cndmask_b32_e64 v8, 0, 1, vcc
	v_or_b32_e32 v5, v19, v5
	v_cmp_gt_i32_e32 vcc, 1, v7
	v_cndmask_b32_e32 v5, v16, v5, vcc
	v_or_b32_e32 v8, v20, v8
	v_cmp_gt_i32_e32 vcc, 1, v11
	v_and_b32_e32 v14, 7, v5
	v_cndmask_b32_e32 v8, v18, v8, vcc
	v_cmp_lt_i32_e32 vcc, 5, v14
	v_cmp_eq_u32_e64 s[0:1], 3, v14
	v_lshrrev_b32_e32 v5, 2, v5
	v_and_b32_e32 v16, 7, v8
	s_or_b64 vcc, s[0:1], vcc
	v_cmp_lt_i32_e64 s[2:3], 5, v16
	v_cmp_eq_u32_e64 s[4:5], 3, v16
	v_addc_co_u32_e32 v5, vcc, 0, v5, vcc
	v_lshrrev_b32_e32 v8, 2, v8
	s_or_b64 vcc, s[4:5], s[2:3]
	v_addc_co_u32_e32 v8, vcc, 0, v8, vcc
	v_cmp_gt_i32_e32 vcc, 31, v7
	v_cndmask_b32_e32 v5, v2, v5, vcc
	v_cmp_gt_i32_e32 vcc, 31, v11
	v_lshl_or_b32 v3, v3, 9, v2
	v_cndmask_b32_e32 v8, v2, v8, vcc
	v_cmp_eq_u32_e32 vcc, s11, v7
	v_lshrrev_b32_e32 v6, 16, v6
	v_lshl_or_b32 v0, v0, 9, v2
	v_cndmask_b32_e32 v3, v5, v3, vcc
	v_cmp_eq_u32_e32 vcc, s11, v11
	v_lshrrev_b32_e32 v1, 16, v1
	v_cndmask_b32_e32 v0, v8, v0, vcc
	v_and_or_b32 v3, v6, s14, v3
	v_and_or_b32 v0, v1, s14, v0
	v_and_b32_e32 v1, 0xffff, v3
	v_lshl_or_b32 v0, v0, 16, v1
	global_store_dword v[9:10], v0, off
	global_load_dword v3, v[12:13], off offset:300
	ds_read2_b32 v[0:1], v55 offset0:75 offset1:165
	v_add_co_u32_e32 v9, vcc, s6, v9
	s_waitcnt lgkmcnt(0)
	v_lshrrev_b32_e32 v5, 16, v0
	s_waitcnt vmcnt(0)
	v_mul_f16_sdwa v6, v5, v3 dst_sel:DWORD dst_unused:UNUSED_PAD src0_sel:DWORD src1_sel:WORD_1
	v_fma_f16 v6, v0, v3, v6
	v_mul_f16_sdwa v0, v0, v3 dst_sel:DWORD dst_unused:UNUSED_PAD src0_sel:DWORD src1_sel:WORD_1
	v_cvt_f32_f16_e32 v6, v6
	v_fma_f16 v0, v3, v5, -v0
	v_cvt_f32_f16_e32 v0, v0
	v_cvt_f64_f32_e32 v[5:6], v6
	v_cvt_f64_f32_e32 v[7:8], v0
	v_mov_b32_e32 v0, s7
	v_mul_f64 v[5:6], v[5:6], s[12:13]
	v_addc_co_u32_e32 v10, vcc, v10, v0, vcc
	v_mul_f64 v[7:8], v[7:8], s[12:13]
	v_and_or_b32 v3, v6, s15, v5
	v_cmp_ne_u32_e32 vcc, 0, v3
	v_lshrrev_b32_e32 v5, 8, v6
	v_and_or_b32 v7, v8, s15, v7
	v_bfe_u32 v11, v6, 20, 11
	v_cndmask_b32_e64 v3, 0, 1, vcc
	v_cmp_ne_u32_e32 vcc, 0, v7
	v_lshrrev_b32_e32 v14, 8, v8
	v_bfe_u32 v16, v8, 20, 11
	v_sub_u32_e32 v17, 0x3f1, v11
	v_cndmask_b32_e64 v7, 0, 1, vcc
	v_and_or_b32 v3, v5, s10, v3
	v_sub_u32_e32 v18, 0x3f1, v16
	v_med3_i32 v5, v17, 0, 13
	v_and_or_b32 v7, v14, s10, v7
	v_or_b32_e32 v17, 0x1000, v3
	v_add_u32_e32 v11, 0xfffffc10, v11
	v_med3_i32 v14, v18, 0, 13
	v_cmp_ne_u32_e32 vcc, 0, v3
	v_or_b32_e32 v19, 0x1000, v7
	v_lshrrev_b32_e32 v21, v5, v17
	v_add_u32_e32 v16, 0xfffffc10, v16
	v_lshl_or_b32 v18, v11, 12, v3
	v_cndmask_b32_e64 v3, 0, 1, vcc
	v_cmp_ne_u32_e32 vcc, 0, v7
	v_lshrrev_b32_e32 v22, v14, v19
	v_lshlrev_b32_e32 v5, v5, v21
	v_lshl_or_b32 v20, v16, 12, v7
	v_cndmask_b32_e64 v7, 0, 1, vcc
	v_lshlrev_b32_e32 v14, v14, v22
	v_cmp_ne_u32_e32 vcc, v5, v17
	v_cndmask_b32_e64 v5, 0, 1, vcc
	v_cmp_ne_u32_e32 vcc, v14, v19
	v_cndmask_b32_e64 v14, 0, 1, vcc
	v_or_b32_e32 v5, v21, v5
	v_cmp_gt_i32_e32 vcc, 1, v11
	v_cndmask_b32_e32 v5, v18, v5, vcc
	v_or_b32_e32 v14, v22, v14
	v_cmp_gt_i32_e32 vcc, 1, v16
	v_and_b32_e32 v17, 7, v5
	v_cndmask_b32_e32 v14, v20, v14, vcc
	v_cmp_lt_i32_e32 vcc, 5, v17
	v_cmp_eq_u32_e64 s[0:1], 3, v17
	v_lshrrev_b32_e32 v5, 2, v5
	v_and_b32_e32 v18, 7, v14
	s_or_b64 vcc, s[0:1], vcc
	v_cmp_lt_i32_e64 s[2:3], 5, v18
	v_cmp_eq_u32_e64 s[4:5], 3, v18
	v_addc_co_u32_e32 v5, vcc, 0, v5, vcc
	v_lshrrev_b32_e32 v14, 2, v14
	s_or_b64 vcc, s[4:5], s[2:3]
	v_addc_co_u32_e32 v14, vcc, 0, v14, vcc
	v_cmp_gt_i32_e32 vcc, 31, v11
	v_cndmask_b32_e32 v5, v2, v5, vcc
	v_cmp_gt_i32_e32 vcc, 31, v16
	v_lshl_or_b32 v3, v3, 9, v2
	v_cndmask_b32_e32 v14, v2, v14, vcc
	v_cmp_eq_u32_e32 vcc, s11, v11
	v_lshrrev_b32_e32 v6, 16, v6
	v_lshl_or_b32 v7, v7, 9, v2
	v_cndmask_b32_e32 v3, v5, v3, vcc
	v_cmp_eq_u32_e32 vcc, s11, v16
	v_lshrrev_b32_e32 v8, 16, v8
	v_cndmask_b32_e32 v5, v14, v7, vcc
	v_and_or_b32 v3, v6, s14, v3
	v_and_or_b32 v5, v8, s14, v5
	v_and_b32_e32 v3, 0xffff, v3
	v_lshl_or_b32 v3, v5, 16, v3
	global_store_dword v[9:10], v3, off
	global_load_dword v3, v[12:13], off offset:480
	v_lshrrev_b32_e32 v5, 16, v4
	v_add_co_u32_e32 v7, vcc, s6, v9
	v_addc_co_u32_e32 v8, vcc, v10, v0, vcc
	s_waitcnt vmcnt(0)
	v_mul_f16_sdwa v6, v5, v3 dst_sel:DWORD dst_unused:UNUSED_PAD src0_sel:DWORD src1_sel:WORD_1
	v_fma_f16 v6, v4, v3, v6
	v_mul_f16_sdwa v4, v4, v3 dst_sel:DWORD dst_unused:UNUSED_PAD src0_sel:DWORD src1_sel:WORD_1
	v_cvt_f32_f16_e32 v6, v6
	v_fma_f16 v3, v3, v5, -v4
	v_cvt_f32_f16_e32 v5, v3
	v_cvt_f64_f32_e32 v[3:4], v6
	v_cvt_f64_f32_e32 v[5:6], v5
	v_mul_f64 v[3:4], v[3:4], s[12:13]
	v_mul_f64 v[5:6], v[5:6], s[12:13]
	v_and_or_b32 v3, v4, s15, v3
	v_cmp_ne_u32_e32 vcc, 0, v3
	v_and_or_b32 v5, v6, s15, v5
	v_lshrrev_b32_e32 v9, 8, v4
	v_bfe_u32 v10, v4, 20, 11
	v_cndmask_b32_e64 v3, 0, 1, vcc
	v_cmp_ne_u32_e32 vcc, 0, v5
	v_lshrrev_b32_e32 v11, 8, v6
	v_bfe_u32 v14, v6, 20, 11
	v_sub_u32_e32 v16, 0x3f1, v10
	v_cndmask_b32_e64 v5, 0, 1, vcc
	v_and_or_b32 v3, v9, s10, v3
	v_sub_u32_e32 v17, 0x3f1, v14
	v_med3_i32 v9, v16, 0, 13
	v_and_or_b32 v5, v11, s10, v5
	v_or_b32_e32 v16, 0x1000, v3
	v_add_u32_e32 v10, 0xfffffc10, v10
	v_med3_i32 v11, v17, 0, 13
	v_cmp_ne_u32_e32 vcc, 0, v3
	v_or_b32_e32 v18, 0x1000, v5
	v_lshrrev_b32_e32 v20, v9, v16
	v_add_u32_e32 v14, 0xfffffc10, v14
	v_lshl_or_b32 v17, v10, 12, v3
	v_cndmask_b32_e64 v3, 0, 1, vcc
	v_cmp_ne_u32_e32 vcc, 0, v5
	v_lshrrev_b32_e32 v21, v11, v18
	v_lshlrev_b32_e32 v9, v9, v20
	v_lshl_or_b32 v19, v14, 12, v5
	v_cndmask_b32_e64 v5, 0, 1, vcc
	v_lshlrev_b32_e32 v11, v11, v21
	v_cmp_ne_u32_e32 vcc, v9, v16
	v_cndmask_b32_e64 v9, 0, 1, vcc
	v_cmp_ne_u32_e32 vcc, v11, v18
	v_cndmask_b32_e64 v11, 0, 1, vcc
	v_or_b32_e32 v9, v20, v9
	v_cmp_gt_i32_e32 vcc, 1, v10
	v_cndmask_b32_e32 v9, v17, v9, vcc
	v_or_b32_e32 v11, v21, v11
	v_cmp_gt_i32_e32 vcc, 1, v14
	v_and_b32_e32 v16, 7, v9
	v_cndmask_b32_e32 v11, v19, v11, vcc
	v_cmp_lt_i32_e32 vcc, 5, v16
	v_cmp_eq_u32_e64 s[0:1], 3, v16
	v_lshrrev_b32_e32 v9, 2, v9
	v_and_b32_e32 v17, 7, v11
	s_or_b64 vcc, s[0:1], vcc
	v_cmp_lt_i32_e64 s[2:3], 5, v17
	v_cmp_eq_u32_e64 s[4:5], 3, v17
	v_addc_co_u32_e32 v9, vcc, 0, v9, vcc
	v_lshrrev_b32_e32 v11, 2, v11
	s_or_b64 vcc, s[4:5], s[2:3]
	v_addc_co_u32_e32 v11, vcc, 0, v11, vcc
	v_cmp_gt_i32_e32 vcc, 31, v10
	v_cndmask_b32_e32 v9, v2, v9, vcc
	v_cmp_gt_i32_e32 vcc, 31, v14
	v_lshl_or_b32 v3, v3, 9, v2
	v_cndmask_b32_e32 v11, v2, v11, vcc
	v_cmp_eq_u32_e32 vcc, s11, v10
	v_lshrrev_b32_e32 v4, 16, v4
	v_lshl_or_b32 v5, v5, 9, v2
	v_cndmask_b32_e32 v3, v9, v3, vcc
	v_cmp_eq_u32_e32 vcc, s11, v14
	v_lshrrev_b32_e32 v6, 16, v6
	v_cndmask_b32_e32 v5, v11, v5, vcc
	v_and_or_b32 v3, v4, s14, v3
	v_and_or_b32 v4, v6, s14, v5
	v_and_b32_e32 v3, 0xffff, v3
	v_lshl_or_b32 v3, v4, 16, v3
	global_store_dword v[7:8], v3, off
	global_load_dword v3, v[12:13], off offset:660
	v_lshrrev_b32_e32 v4, 16, v1
	v_add_co_u32_e32 v7, vcc, s6, v7
	v_addc_co_u32_e32 v8, vcc, v8, v0, vcc
	s_waitcnt vmcnt(0)
	v_mul_f16_sdwa v5, v4, v3 dst_sel:DWORD dst_unused:UNUSED_PAD src0_sel:DWORD src1_sel:WORD_1
	v_fma_f16 v5, v1, v3, v5
	v_mul_f16_sdwa v1, v1, v3 dst_sel:DWORD dst_unused:UNUSED_PAD src0_sel:DWORD src1_sel:WORD_1
	v_cvt_f32_f16_e32 v5, v5
	v_fma_f16 v1, v3, v4, -v1
	v_cvt_f32_f16_e32 v1, v1
	v_cvt_f64_f32_e32 v[3:4], v5
	v_cvt_f64_f32_e32 v[5:6], v1
	v_mul_f64 v[3:4], v[3:4], s[12:13]
	v_mul_f64 v[5:6], v[5:6], s[12:13]
	v_and_or_b32 v1, v4, s15, v3
	v_cmp_ne_u32_e32 vcc, 0, v1
	v_and_or_b32 v5, v6, s15, v5
	v_lshrrev_b32_e32 v3, 8, v4
	v_bfe_u32 v9, v4, 20, 11
	v_cndmask_b32_e64 v1, 0, 1, vcc
	v_cmp_ne_u32_e32 vcc, 0, v5
	v_lshrrev_b32_e32 v10, 8, v6
	v_bfe_u32 v11, v6, 20, 11
	v_sub_u32_e32 v14, 0x3f1, v9
	v_cndmask_b32_e64 v5, 0, 1, vcc
	v_and_or_b32 v1, v3, s10, v1
	v_sub_u32_e32 v16, 0x3f1, v11
	v_med3_i32 v3, v14, 0, 13
	v_and_or_b32 v5, v10, s10, v5
	v_or_b32_e32 v14, 0x1000, v1
	v_add_u32_e32 v9, 0xfffffc10, v9
	v_med3_i32 v10, v16, 0, 13
	v_cmp_ne_u32_e32 vcc, 0, v1
	v_or_b32_e32 v17, 0x1000, v5
	v_lshrrev_b32_e32 v19, v3, v14
	v_add_u32_e32 v11, 0xfffffc10, v11
	v_lshl_or_b32 v16, v9, 12, v1
	v_cndmask_b32_e64 v1, 0, 1, vcc
	v_cmp_ne_u32_e32 vcc, 0, v5
	v_lshrrev_b32_e32 v20, v10, v17
	v_lshlrev_b32_e32 v3, v3, v19
	v_lshl_or_b32 v18, v11, 12, v5
	v_cndmask_b32_e64 v5, 0, 1, vcc
	v_lshlrev_b32_e32 v10, v10, v20
	v_cmp_ne_u32_e32 vcc, v3, v14
	v_cndmask_b32_e64 v3, 0, 1, vcc
	v_cmp_ne_u32_e32 vcc, v10, v17
	v_cndmask_b32_e64 v10, 0, 1, vcc
	v_or_b32_e32 v3, v19, v3
	v_cmp_gt_i32_e32 vcc, 1, v9
	v_cndmask_b32_e32 v3, v16, v3, vcc
	v_or_b32_e32 v10, v20, v10
	v_cmp_gt_i32_e32 vcc, 1, v11
	v_and_b32_e32 v14, 7, v3
	v_cndmask_b32_e32 v10, v18, v10, vcc
	v_cmp_lt_i32_e32 vcc, 5, v14
	v_cmp_eq_u32_e64 s[0:1], 3, v14
	v_lshrrev_b32_e32 v3, 2, v3
	v_and_b32_e32 v16, 7, v10
	s_or_b64 vcc, s[0:1], vcc
	v_cmp_lt_i32_e64 s[2:3], 5, v16
	v_cmp_eq_u32_e64 s[4:5], 3, v16
	v_addc_co_u32_e32 v3, vcc, 0, v3, vcc
	v_lshrrev_b32_e32 v10, 2, v10
	s_or_b64 vcc, s[4:5], s[2:3]
	v_addc_co_u32_e32 v10, vcc, 0, v10, vcc
	v_cmp_gt_i32_e32 vcc, 31, v9
	v_cndmask_b32_e32 v3, v2, v3, vcc
	v_cmp_gt_i32_e32 vcc, 31, v11
	v_lshl_or_b32 v1, v1, 9, v2
	v_cndmask_b32_e32 v10, v2, v10, vcc
	v_cmp_eq_u32_e32 vcc, s11, v9
	v_lshrrev_b32_e32 v4, 16, v4
	v_lshl_or_b32 v5, v5, 9, v2
	v_cndmask_b32_e32 v1, v3, v1, vcc
	v_cmp_eq_u32_e32 vcc, s11, v11
	v_lshrrev_b32_e32 v6, 16, v6
	v_cndmask_b32_e32 v3, v10, v5, vcc
	v_and_or_b32 v1, v4, s14, v1
	v_and_or_b32 v3, v6, s14, v3
	v_and_b32_e32 v1, 0xffff, v1
	v_lshl_or_b32 v1, v3, 16, v1
	global_store_dword v[7:8], v1, off
	global_load_dword v1, v[12:13], off offset:840
	ds_read2_b32 v[3:4], v55 offset0:210 offset1:255
	v_add_co_u32_e32 v7, vcc, s6, v7
	v_addc_co_u32_e32 v8, vcc, v8, v0, vcc
	s_waitcnt lgkmcnt(0)
	v_lshrrev_b32_e32 v5, 16, v3
	s_waitcnt vmcnt(0)
	v_mul_f16_sdwa v6, v5, v1 dst_sel:DWORD dst_unused:UNUSED_PAD src0_sel:DWORD src1_sel:WORD_1
	v_fma_f16 v6, v3, v1, v6
	v_mul_f16_sdwa v3, v3, v1 dst_sel:DWORD dst_unused:UNUSED_PAD src0_sel:DWORD src1_sel:WORD_1
	v_cvt_f32_f16_e32 v6, v6
	v_fma_f16 v1, v1, v5, -v3
	v_cvt_f32_f16_e32 v1, v1
	v_cvt_f64_f32_e32 v[5:6], v6
	v_cvt_f64_f32_e32 v[9:10], v1
	v_mul_f64 v[5:6], v[5:6], s[12:13]
	v_mul_f64 v[9:10], v[9:10], s[12:13]
	v_and_or_b32 v1, v6, s15, v5
	v_cmp_ne_u32_e32 vcc, 0, v1
	v_and_or_b32 v9, v10, s15, v9
	v_lshrrev_b32_e32 v3, 8, v6
	v_bfe_u32 v5, v6, 20, 11
	v_cndmask_b32_e64 v1, 0, 1, vcc
	v_cmp_ne_u32_e32 vcc, 0, v9
	v_lshrrev_b32_e32 v11, 8, v10
	v_bfe_u32 v14, v10, 20, 11
	v_sub_u32_e32 v16, 0x3f1, v5
	v_cndmask_b32_e64 v9, 0, 1, vcc
	v_and_or_b32 v1, v3, s10, v1
	v_sub_u32_e32 v17, 0x3f1, v14
	v_med3_i32 v3, v16, 0, 13
	v_and_or_b32 v9, v11, s10, v9
	v_or_b32_e32 v16, 0x1000, v1
	v_add_u32_e32 v5, 0xfffffc10, v5
	v_med3_i32 v11, v17, 0, 13
	v_cmp_ne_u32_e32 vcc, 0, v1
	v_or_b32_e32 v18, 0x1000, v9
	v_lshrrev_b32_e32 v20, v3, v16
	v_add_u32_e32 v14, 0xfffffc10, v14
	v_lshl_or_b32 v17, v5, 12, v1
	v_cndmask_b32_e64 v1, 0, 1, vcc
	v_cmp_ne_u32_e32 vcc, 0, v9
	v_lshrrev_b32_e32 v21, v11, v18
	v_lshlrev_b32_e32 v3, v3, v20
	v_lshl_or_b32 v19, v14, 12, v9
	v_cndmask_b32_e64 v9, 0, 1, vcc
	v_lshlrev_b32_e32 v11, v11, v21
	v_cmp_ne_u32_e32 vcc, v3, v16
	v_cndmask_b32_e64 v3, 0, 1, vcc
	v_cmp_ne_u32_e32 vcc, v11, v18
	v_cndmask_b32_e64 v11, 0, 1, vcc
	v_or_b32_e32 v3, v20, v3
	v_cmp_gt_i32_e32 vcc, 1, v5
	v_cndmask_b32_e32 v3, v17, v3, vcc
	v_or_b32_e32 v11, v21, v11
	v_cmp_gt_i32_e32 vcc, 1, v14
	v_and_b32_e32 v16, 7, v3
	v_cndmask_b32_e32 v11, v19, v11, vcc
	v_cmp_lt_i32_e32 vcc, 5, v16
	v_cmp_eq_u32_e64 s[0:1], 3, v16
	v_lshrrev_b32_e32 v3, 2, v3
	v_and_b32_e32 v17, 7, v11
	s_or_b64 vcc, s[0:1], vcc
	v_cmp_lt_i32_e64 s[2:3], 5, v17
	v_cmp_eq_u32_e64 s[4:5], 3, v17
	v_addc_co_u32_e32 v3, vcc, 0, v3, vcc
	v_lshrrev_b32_e32 v11, 2, v11
	s_or_b64 vcc, s[4:5], s[2:3]
	v_addc_co_u32_e32 v11, vcc, 0, v11, vcc
	v_cmp_gt_i32_e32 vcc, 31, v5
	v_cndmask_b32_e32 v3, v2, v3, vcc
	v_cmp_gt_i32_e32 vcc, 31, v14
	v_lshl_or_b32 v1, v1, 9, v2
	v_cndmask_b32_e32 v11, v2, v11, vcc
	v_cmp_eq_u32_e32 vcc, s11, v5
	v_lshrrev_b32_e32 v6, 16, v6
	v_lshl_or_b32 v9, v9, 9, v2
	v_cndmask_b32_e32 v1, v3, v1, vcc
	v_cmp_eq_u32_e32 vcc, s11, v14
	v_lshrrev_b32_e32 v10, 16, v10
	v_cndmask_b32_e32 v3, v11, v9, vcc
	v_and_or_b32 v1, v6, s14, v1
	v_and_or_b32 v3, v10, s14, v3
	v_and_b32_e32 v1, 0xffff, v1
	v_lshl_or_b32 v1, v3, 16, v1
	global_store_dword v[7:8], v1, off
	global_load_dword v1, v[12:13], off offset:1020
	v_lshrrev_b32_e32 v3, 16, v4
	v_add_co_u32_e32 v7, vcc, s6, v7
	v_addc_co_u32_e32 v8, vcc, v8, v0, vcc
	s_waitcnt vmcnt(0)
	v_mul_f16_sdwa v5, v3, v1 dst_sel:DWORD dst_unused:UNUSED_PAD src0_sel:DWORD src1_sel:WORD_1
	v_fma_f16 v5, v4, v1, v5
	v_mul_f16_sdwa v4, v4, v1 dst_sel:DWORD dst_unused:UNUSED_PAD src0_sel:DWORD src1_sel:WORD_1
	v_cvt_f32_f16_e32 v5, v5
	v_fma_f16 v1, v1, v3, -v4
	v_cvt_f32_f16_e32 v1, v1
	v_cvt_f64_f32_e32 v[3:4], v5
	v_cvt_f64_f32_e32 v[5:6], v1
	v_mul_f64 v[3:4], v[3:4], s[12:13]
	v_mul_f64 v[5:6], v[5:6], s[12:13]
	v_and_or_b32 v1, v4, s15, v3
	v_cmp_ne_u32_e32 vcc, 0, v1
	v_and_or_b32 v5, v6, s15, v5
	v_lshrrev_b32_e32 v3, 8, v4
	v_bfe_u32 v9, v4, 20, 11
	v_cndmask_b32_e64 v1, 0, 1, vcc
	v_cmp_ne_u32_e32 vcc, 0, v5
	v_lshrrev_b32_e32 v10, 8, v6
	v_bfe_u32 v11, v6, 20, 11
	v_sub_u32_e32 v14, 0x3f1, v9
	v_cndmask_b32_e64 v5, 0, 1, vcc
	v_and_or_b32 v1, v3, s10, v1
	v_sub_u32_e32 v16, 0x3f1, v11
	v_med3_i32 v3, v14, 0, 13
	v_and_or_b32 v5, v10, s10, v5
	v_or_b32_e32 v14, 0x1000, v1
	v_add_u32_e32 v9, 0xfffffc10, v9
	v_med3_i32 v10, v16, 0, 13
	v_cmp_ne_u32_e32 vcc, 0, v1
	v_or_b32_e32 v17, 0x1000, v5
	v_lshrrev_b32_e32 v19, v3, v14
	v_add_u32_e32 v11, 0xfffffc10, v11
	v_lshl_or_b32 v16, v9, 12, v1
	v_cndmask_b32_e64 v1, 0, 1, vcc
	v_cmp_ne_u32_e32 vcc, 0, v5
	v_lshrrev_b32_e32 v20, v10, v17
	v_lshlrev_b32_e32 v3, v3, v19
	v_lshl_or_b32 v18, v11, 12, v5
	v_cndmask_b32_e64 v5, 0, 1, vcc
	v_lshlrev_b32_e32 v10, v10, v20
	v_cmp_ne_u32_e32 vcc, v3, v14
	v_cndmask_b32_e64 v3, 0, 1, vcc
	v_cmp_ne_u32_e32 vcc, v10, v17
	v_cndmask_b32_e64 v10, 0, 1, vcc
	v_or_b32_e32 v3, v19, v3
	v_cmp_gt_i32_e32 vcc, 1, v9
	v_cndmask_b32_e32 v3, v16, v3, vcc
	v_or_b32_e32 v10, v20, v10
	v_cmp_gt_i32_e32 vcc, 1, v11
	v_and_b32_e32 v14, 7, v3
	v_cndmask_b32_e32 v10, v18, v10, vcc
	v_cmp_lt_i32_e32 vcc, 5, v14
	v_cmp_eq_u32_e64 s[0:1], 3, v14
	v_lshrrev_b32_e32 v3, 2, v3
	v_and_b32_e32 v16, 7, v10
	s_or_b64 vcc, s[0:1], vcc
	v_cmp_lt_i32_e64 s[2:3], 5, v16
	v_cmp_eq_u32_e64 s[4:5], 3, v16
	v_addc_co_u32_e32 v3, vcc, 0, v3, vcc
	v_lshrrev_b32_e32 v10, 2, v10
	s_or_b64 vcc, s[4:5], s[2:3]
	v_addc_co_u32_e32 v10, vcc, 0, v10, vcc
	v_cmp_gt_i32_e32 vcc, 31, v9
	v_cndmask_b32_e32 v3, v2, v3, vcc
	v_cmp_gt_i32_e32 vcc, 31, v11
	v_lshl_or_b32 v1, v1, 9, v2
	v_cndmask_b32_e32 v10, v2, v10, vcc
	v_cmp_eq_u32_e32 vcc, s11, v9
	v_lshrrev_b32_e32 v4, 16, v4
	v_lshl_or_b32 v5, v5, 9, v2
	v_cndmask_b32_e32 v1, v3, v1, vcc
	v_cmp_eq_u32_e32 vcc, s11, v11
	v_lshrrev_b32_e32 v6, 16, v6
	v_cndmask_b32_e32 v3, v10, v5, vcc
	v_and_or_b32 v1, v4, s14, v1
	v_and_or_b32 v3, v6, s14, v3
	v_and_b32_e32 v1, 0xffff, v1
	v_lshl_or_b32 v1, v3, 16, v1
	global_store_dword v[7:8], v1, off
	global_load_dword v1, v[12:13], off offset:1200
	ds_read2_b32 v[3:4], v15 offset0:44 offset1:89
	v_add_co_u32_e32 v7, vcc, s6, v7
	v_addc_co_u32_e32 v8, vcc, v8, v0, vcc
	s_waitcnt lgkmcnt(0)
	v_lshrrev_b32_e32 v5, 16, v3
	s_waitcnt vmcnt(0)
	v_mul_f16_sdwa v6, v5, v1 dst_sel:DWORD dst_unused:UNUSED_PAD src0_sel:DWORD src1_sel:WORD_1
	v_fma_f16 v6, v3, v1, v6
	v_mul_f16_sdwa v3, v3, v1 dst_sel:DWORD dst_unused:UNUSED_PAD src0_sel:DWORD src1_sel:WORD_1
	v_cvt_f32_f16_e32 v6, v6
	v_fma_f16 v1, v1, v5, -v3
	v_cvt_f32_f16_e32 v1, v1
	v_cvt_f64_f32_e32 v[5:6], v6
	v_cvt_f64_f32_e32 v[9:10], v1
	v_mul_f64 v[5:6], v[5:6], s[12:13]
	v_mul_f64 v[9:10], v[9:10], s[12:13]
	v_and_or_b32 v1, v6, s15, v5
	v_cmp_ne_u32_e32 vcc, 0, v1
	v_and_or_b32 v9, v10, s15, v9
	v_lshrrev_b32_e32 v3, 8, v6
	v_bfe_u32 v5, v6, 20, 11
	v_cndmask_b32_e64 v1, 0, 1, vcc
	v_cmp_ne_u32_e32 vcc, 0, v9
	v_lshrrev_b32_e32 v11, 8, v10
	v_bfe_u32 v14, v10, 20, 11
	v_sub_u32_e32 v16, 0x3f1, v5
	v_cndmask_b32_e64 v9, 0, 1, vcc
	v_and_or_b32 v1, v3, s10, v1
	v_sub_u32_e32 v17, 0x3f1, v14
	v_med3_i32 v3, v16, 0, 13
	v_and_or_b32 v9, v11, s10, v9
	v_or_b32_e32 v16, 0x1000, v1
	v_add_u32_e32 v5, 0xfffffc10, v5
	v_med3_i32 v11, v17, 0, 13
	v_cmp_ne_u32_e32 vcc, 0, v1
	v_or_b32_e32 v18, 0x1000, v9
	v_lshrrev_b32_e32 v20, v3, v16
	v_add_u32_e32 v14, 0xfffffc10, v14
	v_lshl_or_b32 v17, v5, 12, v1
	v_cndmask_b32_e64 v1, 0, 1, vcc
	v_cmp_ne_u32_e32 vcc, 0, v9
	v_lshrrev_b32_e32 v21, v11, v18
	v_lshlrev_b32_e32 v3, v3, v20
	v_lshl_or_b32 v19, v14, 12, v9
	v_cndmask_b32_e64 v9, 0, 1, vcc
	v_lshlrev_b32_e32 v11, v11, v21
	v_cmp_ne_u32_e32 vcc, v3, v16
	v_cndmask_b32_e64 v3, 0, 1, vcc
	v_cmp_ne_u32_e32 vcc, v11, v18
	v_cndmask_b32_e64 v11, 0, 1, vcc
	v_or_b32_e32 v3, v20, v3
	v_cmp_gt_i32_e32 vcc, 1, v5
	v_cndmask_b32_e32 v3, v17, v3, vcc
	v_or_b32_e32 v11, v21, v11
	v_cmp_gt_i32_e32 vcc, 1, v14
	v_and_b32_e32 v16, 7, v3
	v_cndmask_b32_e32 v11, v19, v11, vcc
	v_cmp_lt_i32_e32 vcc, 5, v16
	v_cmp_eq_u32_e64 s[0:1], 3, v16
	v_lshrrev_b32_e32 v3, 2, v3
	v_and_b32_e32 v17, 7, v11
	s_or_b64 vcc, s[0:1], vcc
	v_cmp_lt_i32_e64 s[2:3], 5, v17
	v_cmp_eq_u32_e64 s[4:5], 3, v17
	v_addc_co_u32_e32 v3, vcc, 0, v3, vcc
	v_lshrrev_b32_e32 v11, 2, v11
	s_or_b64 vcc, s[4:5], s[2:3]
	v_addc_co_u32_e32 v11, vcc, 0, v11, vcc
	v_cmp_gt_i32_e32 vcc, 31, v5
	v_cndmask_b32_e32 v3, v2, v3, vcc
	v_cmp_gt_i32_e32 vcc, 31, v14
	v_lshl_or_b32 v1, v1, 9, v2
	v_cndmask_b32_e32 v11, v2, v11, vcc
	v_cmp_eq_u32_e32 vcc, s11, v5
	v_lshrrev_b32_e32 v6, 16, v6
	v_lshl_or_b32 v9, v9, 9, v2
	v_cndmask_b32_e32 v1, v3, v1, vcc
	v_cmp_eq_u32_e32 vcc, s11, v14
	v_lshrrev_b32_e32 v10, 16, v10
	v_cndmask_b32_e32 v3, v11, v9, vcc
	v_and_or_b32 v1, v6, s14, v1
	v_and_or_b32 v3, v10, s14, v3
	v_and_b32_e32 v1, 0xffff, v1
	v_lshl_or_b32 v1, v3, 16, v1
	global_store_dword v[7:8], v1, off
	global_load_dword v1, v[12:13], off offset:1380
	v_lshrrev_b32_e32 v3, 16, v4
	v_add_co_u32_e32 v7, vcc, s6, v7
	v_addc_co_u32_e32 v8, vcc, v8, v0, vcc
	s_waitcnt vmcnt(0)
	v_mul_f16_sdwa v5, v3, v1 dst_sel:DWORD dst_unused:UNUSED_PAD src0_sel:DWORD src1_sel:WORD_1
	v_fma_f16 v5, v4, v1, v5
	v_mul_f16_sdwa v4, v4, v1 dst_sel:DWORD dst_unused:UNUSED_PAD src0_sel:DWORD src1_sel:WORD_1
	v_cvt_f32_f16_e32 v5, v5
	v_fma_f16 v1, v1, v3, -v4
	v_cvt_f32_f16_e32 v1, v1
	v_cvt_f64_f32_e32 v[3:4], v5
	v_cvt_f64_f32_e32 v[5:6], v1
	v_mul_f64 v[3:4], v[3:4], s[12:13]
	v_mul_f64 v[5:6], v[5:6], s[12:13]
	v_and_or_b32 v1, v4, s15, v3
	v_cmp_ne_u32_e32 vcc, 0, v1
	v_and_or_b32 v5, v6, s15, v5
	v_lshrrev_b32_e32 v3, 8, v4
	v_bfe_u32 v9, v4, 20, 11
	v_cndmask_b32_e64 v1, 0, 1, vcc
	v_cmp_ne_u32_e32 vcc, 0, v5
	v_lshrrev_b32_e32 v10, 8, v6
	v_bfe_u32 v11, v6, 20, 11
	v_sub_u32_e32 v14, 0x3f1, v9
	v_cndmask_b32_e64 v5, 0, 1, vcc
	v_and_or_b32 v1, v3, s10, v1
	v_sub_u32_e32 v16, 0x3f1, v11
	v_med3_i32 v3, v14, 0, 13
	v_and_or_b32 v5, v10, s10, v5
	v_or_b32_e32 v14, 0x1000, v1
	v_add_u32_e32 v9, 0xfffffc10, v9
	v_med3_i32 v10, v16, 0, 13
	v_cmp_ne_u32_e32 vcc, 0, v1
	v_or_b32_e32 v17, 0x1000, v5
	v_lshrrev_b32_e32 v19, v3, v14
	v_add_u32_e32 v11, 0xfffffc10, v11
	v_lshl_or_b32 v16, v9, 12, v1
	v_cndmask_b32_e64 v1, 0, 1, vcc
	v_cmp_ne_u32_e32 vcc, 0, v5
	v_lshrrev_b32_e32 v20, v10, v17
	v_lshlrev_b32_e32 v3, v3, v19
	v_lshl_or_b32 v18, v11, 12, v5
	v_cndmask_b32_e64 v5, 0, 1, vcc
	v_lshlrev_b32_e32 v10, v10, v20
	v_cmp_ne_u32_e32 vcc, v3, v14
	v_cndmask_b32_e64 v3, 0, 1, vcc
	v_cmp_ne_u32_e32 vcc, v10, v17
	v_cndmask_b32_e64 v10, 0, 1, vcc
	v_or_b32_e32 v3, v19, v3
	v_cmp_gt_i32_e32 vcc, 1, v9
	v_cndmask_b32_e32 v3, v16, v3, vcc
	v_or_b32_e32 v10, v20, v10
	v_cmp_gt_i32_e32 vcc, 1, v11
	v_and_b32_e32 v14, 7, v3
	v_cndmask_b32_e32 v10, v18, v10, vcc
	v_cmp_lt_i32_e32 vcc, 5, v14
	v_cmp_eq_u32_e64 s[0:1], 3, v14
	v_lshrrev_b32_e32 v3, 2, v3
	v_and_b32_e32 v16, 7, v10
	s_or_b64 vcc, s[0:1], vcc
	v_cmp_lt_i32_e64 s[2:3], 5, v16
	v_cmp_eq_u32_e64 s[4:5], 3, v16
	v_addc_co_u32_e32 v3, vcc, 0, v3, vcc
	v_lshrrev_b32_e32 v10, 2, v10
	s_or_b64 vcc, s[4:5], s[2:3]
	v_addc_co_u32_e32 v10, vcc, 0, v10, vcc
	v_cmp_gt_i32_e32 vcc, 31, v9
	v_cndmask_b32_e32 v3, v2, v3, vcc
	v_cmp_gt_i32_e32 vcc, 31, v11
	v_lshl_or_b32 v1, v1, 9, v2
	v_cndmask_b32_e32 v10, v2, v10, vcc
	v_cmp_eq_u32_e32 vcc, s11, v9
	v_lshrrev_b32_e32 v4, 16, v4
	v_lshl_or_b32 v5, v5, 9, v2
	v_cndmask_b32_e32 v1, v3, v1, vcc
	v_cmp_eq_u32_e32 vcc, s11, v11
	v_lshrrev_b32_e32 v6, 16, v6
	v_cndmask_b32_e32 v3, v10, v5, vcc
	v_and_or_b32 v1, v4, s14, v1
	v_and_or_b32 v3, v6, s14, v3
	v_and_b32_e32 v1, 0xffff, v1
	v_lshl_or_b32 v1, v3, 16, v1
	global_store_dword v[7:8], v1, off
	global_load_dword v1, v[12:13], off offset:1560
	ds_read2_b32 v[3:4], v15 offset0:134 offset1:179
	v_add_co_u32_e32 v7, vcc, s6, v7
	v_addc_co_u32_e32 v8, vcc, v8, v0, vcc
	s_waitcnt lgkmcnt(0)
	v_lshrrev_b32_e32 v5, 16, v3
	s_waitcnt vmcnt(0)
	v_mul_f16_sdwa v6, v5, v1 dst_sel:DWORD dst_unused:UNUSED_PAD src0_sel:DWORD src1_sel:WORD_1
	v_fma_f16 v6, v3, v1, v6
	v_mul_f16_sdwa v3, v3, v1 dst_sel:DWORD dst_unused:UNUSED_PAD src0_sel:DWORD src1_sel:WORD_1
	v_cvt_f32_f16_e32 v6, v6
	v_fma_f16 v1, v1, v5, -v3
	v_cvt_f32_f16_e32 v1, v1
	v_cvt_f64_f32_e32 v[5:6], v6
	v_cvt_f64_f32_e32 v[9:10], v1
	v_mul_f64 v[5:6], v[5:6], s[12:13]
	v_mul_f64 v[9:10], v[9:10], s[12:13]
	v_and_or_b32 v1, v6, s15, v5
	v_cmp_ne_u32_e32 vcc, 0, v1
	v_and_or_b32 v9, v10, s15, v9
	v_lshrrev_b32_e32 v3, 8, v6
	v_bfe_u32 v5, v6, 20, 11
	v_cndmask_b32_e64 v1, 0, 1, vcc
	v_cmp_ne_u32_e32 vcc, 0, v9
	v_lshrrev_b32_e32 v11, 8, v10
	v_bfe_u32 v14, v10, 20, 11
	v_sub_u32_e32 v15, 0x3f1, v5
	v_cndmask_b32_e64 v9, 0, 1, vcc
	v_and_or_b32 v1, v3, s10, v1
	v_sub_u32_e32 v16, 0x3f1, v14
	v_med3_i32 v3, v15, 0, 13
	v_and_or_b32 v9, v11, s10, v9
	v_or_b32_e32 v15, 0x1000, v1
	v_add_u32_e32 v5, 0xfffffc10, v5
	v_med3_i32 v11, v16, 0, 13
	v_cmp_ne_u32_e32 vcc, 0, v1
	v_or_b32_e32 v17, 0x1000, v9
	v_lshrrev_b32_e32 v19, v3, v15
	v_add_u32_e32 v14, 0xfffffc10, v14
	v_lshl_or_b32 v16, v5, 12, v1
	v_cndmask_b32_e64 v1, 0, 1, vcc
	v_cmp_ne_u32_e32 vcc, 0, v9
	v_lshrrev_b32_e32 v20, v11, v17
	v_lshlrev_b32_e32 v3, v3, v19
	v_lshl_or_b32 v18, v14, 12, v9
	v_cndmask_b32_e64 v9, 0, 1, vcc
	v_lshlrev_b32_e32 v11, v11, v20
	v_cmp_ne_u32_e32 vcc, v3, v15
	v_cndmask_b32_e64 v3, 0, 1, vcc
	v_cmp_ne_u32_e32 vcc, v11, v17
	v_cndmask_b32_e64 v11, 0, 1, vcc
	v_or_b32_e32 v3, v19, v3
	v_cmp_gt_i32_e32 vcc, 1, v5
	v_cndmask_b32_e32 v3, v16, v3, vcc
	v_or_b32_e32 v11, v20, v11
	v_cmp_gt_i32_e32 vcc, 1, v14
	v_and_b32_e32 v15, 7, v3
	v_cndmask_b32_e32 v11, v18, v11, vcc
	v_cmp_lt_i32_e32 vcc, 5, v15
	v_cmp_eq_u32_e64 s[0:1], 3, v15
	v_lshrrev_b32_e32 v3, 2, v3
	v_and_b32_e32 v16, 7, v11
	s_or_b64 vcc, s[0:1], vcc
	v_cmp_lt_i32_e64 s[2:3], 5, v16
	v_cmp_eq_u32_e64 s[4:5], 3, v16
	v_addc_co_u32_e32 v3, vcc, 0, v3, vcc
	v_lshrrev_b32_e32 v11, 2, v11
	s_or_b64 vcc, s[4:5], s[2:3]
	v_addc_co_u32_e32 v11, vcc, 0, v11, vcc
	v_cmp_gt_i32_e32 vcc, 31, v5
	v_cndmask_b32_e32 v3, v2, v3, vcc
	v_cmp_gt_i32_e32 vcc, 31, v14
	v_lshl_or_b32 v1, v1, 9, v2
	v_cndmask_b32_e32 v11, v2, v11, vcc
	v_cmp_eq_u32_e32 vcc, s11, v5
	v_lshrrev_b32_e32 v6, 16, v6
	v_lshl_or_b32 v9, v9, 9, v2
	v_cndmask_b32_e32 v1, v3, v1, vcc
	v_cmp_eq_u32_e32 vcc, s11, v14
	v_lshrrev_b32_e32 v10, 16, v10
	v_cndmask_b32_e32 v3, v11, v9, vcc
	v_and_or_b32 v1, v6, s14, v1
	v_and_or_b32 v3, v10, s14, v3
	v_and_b32_e32 v1, 0xffff, v1
	v_lshl_or_b32 v1, v3, 16, v1
	global_store_dword v[7:8], v1, off
	global_load_dword v1, v[12:13], off offset:1740
	v_lshrrev_b32_e32 v3, 16, v4
	s_waitcnt vmcnt(0)
	v_mul_f16_sdwa v5, v3, v1 dst_sel:DWORD dst_unused:UNUSED_PAD src0_sel:DWORD src1_sel:WORD_1
	v_fma_f16 v5, v4, v1, v5
	v_mul_f16_sdwa v4, v4, v1 dst_sel:DWORD dst_unused:UNUSED_PAD src0_sel:DWORD src1_sel:WORD_1
	v_cvt_f32_f16_e32 v5, v5
	v_fma_f16 v1, v1, v3, -v4
	v_cvt_f32_f16_e32 v1, v1
	v_cvt_f64_f32_e32 v[3:4], v5
	v_cvt_f64_f32_e32 v[5:6], v1
	v_mul_f64 v[3:4], v[3:4], s[12:13]
	v_mul_f64 v[5:6], v[5:6], s[12:13]
	v_and_or_b32 v1, v4, s15, v3
	v_cmp_ne_u32_e32 vcc, 0, v1
	v_and_or_b32 v5, v6, s15, v5
	v_lshrrev_b32_e32 v3, 8, v4
	v_bfe_u32 v9, v4, 20, 11
	v_cndmask_b32_e64 v1, 0, 1, vcc
	v_cmp_ne_u32_e32 vcc, 0, v5
	v_lshrrev_b32_e32 v10, 8, v6
	v_bfe_u32 v11, v6, 20, 11
	v_sub_u32_e32 v12, 0x3f1, v9
	v_cndmask_b32_e64 v5, 0, 1, vcc
	v_and_or_b32 v1, v3, s10, v1
	v_sub_u32_e32 v13, 0x3f1, v11
	v_med3_i32 v3, v12, 0, 13
	v_and_or_b32 v5, v10, s10, v5
	v_or_b32_e32 v12, 0x1000, v1
	v_add_u32_e32 v9, 0xfffffc10, v9
	v_med3_i32 v10, v13, 0, 13
	v_cmp_ne_u32_e32 vcc, 0, v1
	v_or_b32_e32 v14, 0x1000, v5
	v_lshrrev_b32_e32 v16, v3, v12
	v_add_u32_e32 v11, 0xfffffc10, v11
	v_lshl_or_b32 v13, v9, 12, v1
	v_cndmask_b32_e64 v1, 0, 1, vcc
	v_cmp_ne_u32_e32 vcc, 0, v5
	v_lshrrev_b32_e32 v17, v10, v14
	v_lshlrev_b32_e32 v3, v3, v16
	v_lshl_or_b32 v15, v11, 12, v5
	v_cndmask_b32_e64 v5, 0, 1, vcc
	v_lshlrev_b32_e32 v10, v10, v17
	v_cmp_ne_u32_e32 vcc, v3, v12
	v_cndmask_b32_e64 v3, 0, 1, vcc
	v_cmp_ne_u32_e32 vcc, v10, v14
	v_cndmask_b32_e64 v10, 0, 1, vcc
	v_or_b32_e32 v3, v16, v3
	v_cmp_gt_i32_e32 vcc, 1, v9
	v_cndmask_b32_e32 v3, v13, v3, vcc
	v_or_b32_e32 v10, v17, v10
	v_cmp_gt_i32_e32 vcc, 1, v11
	v_and_b32_e32 v12, 7, v3
	v_cndmask_b32_e32 v10, v15, v10, vcc
	v_cmp_lt_i32_e32 vcc, 5, v12
	v_cmp_eq_u32_e64 s[0:1], 3, v12
	v_lshrrev_b32_e32 v3, 2, v3
	v_and_b32_e32 v13, 7, v10
	s_or_b64 vcc, s[0:1], vcc
	v_cmp_lt_i32_e64 s[2:3], 5, v13
	v_cmp_eq_u32_e64 s[4:5], 3, v13
	v_addc_co_u32_e32 v3, vcc, 0, v3, vcc
	v_lshrrev_b32_e32 v10, 2, v10
	s_or_b64 vcc, s[4:5], s[2:3]
	v_addc_co_u32_e32 v10, vcc, 0, v10, vcc
	v_cmp_gt_i32_e32 vcc, 31, v9
	v_cndmask_b32_e32 v3, v2, v3, vcc
	v_cmp_gt_i32_e32 vcc, 31, v11
	v_lshl_or_b32 v1, v1, 9, v2
	v_lshl_or_b32 v5, v5, 9, v2
	v_cndmask_b32_e32 v2, v2, v10, vcc
	v_cmp_eq_u32_e32 vcc, s11, v9
	v_lshrrev_b32_e32 v4, 16, v4
	v_cndmask_b32_e32 v1, v3, v1, vcc
	v_cmp_eq_u32_e32 vcc, s11, v11
	v_lshrrev_b32_e32 v6, 16, v6
	v_cndmask_b32_e32 v2, v2, v5, vcc
	v_and_or_b32 v1, v4, s14, v1
	v_and_or_b32 v2, v6, s14, v2
	v_and_b32_e32 v1, 0xffff, v1
	v_lshl_or_b32 v3, v2, 16, v1
	v_add_co_u32_e32 v1, vcc, s6, v7
	v_addc_co_u32_e32 v2, vcc, v8, v0, vcc
	global_store_dword v[1:2], v3, off
.LBB0_15:
	s_endpgm
	.section	.rodata,"a",@progbits
	.p2align	6, 0x0
	.amdhsa_kernel bluestein_single_fwd_len450_dim1_half_op_CI_CI
		.amdhsa_group_segment_fixed_size 7200
		.amdhsa_private_segment_fixed_size 0
		.amdhsa_kernarg_size 104
		.amdhsa_user_sgpr_count 6
		.amdhsa_user_sgpr_private_segment_buffer 1
		.amdhsa_user_sgpr_dispatch_ptr 0
		.amdhsa_user_sgpr_queue_ptr 0
		.amdhsa_user_sgpr_kernarg_segment_ptr 1
		.amdhsa_user_sgpr_dispatch_id 0
		.amdhsa_user_sgpr_flat_scratch_init 0
		.amdhsa_user_sgpr_private_segment_size 0
		.amdhsa_uses_dynamic_stack 0
		.amdhsa_system_sgpr_private_segment_wavefront_offset 0
		.amdhsa_system_sgpr_workgroup_id_x 1
		.amdhsa_system_sgpr_workgroup_id_y 0
		.amdhsa_system_sgpr_workgroup_id_z 0
		.amdhsa_system_sgpr_workgroup_info 0
		.amdhsa_system_vgpr_workitem_id 0
		.amdhsa_next_free_vgpr 109
		.amdhsa_next_free_sgpr 20
		.amdhsa_reserve_vcc 1
		.amdhsa_reserve_flat_scratch 0
		.amdhsa_float_round_mode_32 0
		.amdhsa_float_round_mode_16_64 0
		.amdhsa_float_denorm_mode_32 3
		.amdhsa_float_denorm_mode_16_64 3
		.amdhsa_dx10_clamp 1
		.amdhsa_ieee_mode 1
		.amdhsa_fp16_overflow 0
		.amdhsa_exception_fp_ieee_invalid_op 0
		.amdhsa_exception_fp_denorm_src 0
		.amdhsa_exception_fp_ieee_div_zero 0
		.amdhsa_exception_fp_ieee_overflow 0
		.amdhsa_exception_fp_ieee_underflow 0
		.amdhsa_exception_fp_ieee_inexact 0
		.amdhsa_exception_int_div_zero 0
	.end_amdhsa_kernel
	.text
.Lfunc_end0:
	.size	bluestein_single_fwd_len450_dim1_half_op_CI_CI, .Lfunc_end0-bluestein_single_fwd_len450_dim1_half_op_CI_CI
                                        ; -- End function
	.section	.AMDGPU.csdata,"",@progbits
; Kernel info:
; codeLenInByte = 26268
; NumSgprs: 24
; NumVgprs: 109
; ScratchSize: 0
; MemoryBound: 0
; FloatMode: 240
; IeeeMode: 1
; LDSByteSize: 7200 bytes/workgroup (compile time only)
; SGPRBlocks: 2
; VGPRBlocks: 27
; NumSGPRsForWavesPerEU: 24
; NumVGPRsForWavesPerEU: 109
; Occupancy: 2
; WaveLimiterHint : 1
; COMPUTE_PGM_RSRC2:SCRATCH_EN: 0
; COMPUTE_PGM_RSRC2:USER_SGPR: 6
; COMPUTE_PGM_RSRC2:TRAP_HANDLER: 0
; COMPUTE_PGM_RSRC2:TGID_X_EN: 1
; COMPUTE_PGM_RSRC2:TGID_Y_EN: 0
; COMPUTE_PGM_RSRC2:TGID_Z_EN: 0
; COMPUTE_PGM_RSRC2:TIDIG_COMP_CNT: 0
	.type	__hip_cuid_701aa24bc798819e,@object ; @__hip_cuid_701aa24bc798819e
	.section	.bss,"aw",@nobits
	.globl	__hip_cuid_701aa24bc798819e
__hip_cuid_701aa24bc798819e:
	.byte	0                               ; 0x0
	.size	__hip_cuid_701aa24bc798819e, 1

	.ident	"AMD clang version 19.0.0git (https://github.com/RadeonOpenCompute/llvm-project roc-6.4.0 25133 c7fe45cf4b819c5991fe208aaa96edf142730f1d)"
	.section	".note.GNU-stack","",@progbits
	.addrsig
	.addrsig_sym __hip_cuid_701aa24bc798819e
	.amdgpu_metadata
---
amdhsa.kernels:
  - .args:
      - .actual_access:  read_only
        .address_space:  global
        .offset:         0
        .size:           8
        .value_kind:     global_buffer
      - .actual_access:  read_only
        .address_space:  global
        .offset:         8
        .size:           8
        .value_kind:     global_buffer
      - .actual_access:  read_only
        .address_space:  global
        .offset:         16
        .size:           8
        .value_kind:     global_buffer
      - .actual_access:  read_only
        .address_space:  global
        .offset:         24
        .size:           8
        .value_kind:     global_buffer
      - .actual_access:  read_only
        .address_space:  global
        .offset:         32
        .size:           8
        .value_kind:     global_buffer
      - .offset:         40
        .size:           8
        .value_kind:     by_value
      - .address_space:  global
        .offset:         48
        .size:           8
        .value_kind:     global_buffer
      - .address_space:  global
        .offset:         56
        .size:           8
        .value_kind:     global_buffer
      - .address_space:  global
        .offset:         64
        .size:           8
        .value_kind:     global_buffer
      - .address_space:  global
        .offset:         72
        .size:           8
        .value_kind:     global_buffer
      - .offset:         80
        .size:           4
        .value_kind:     by_value
      - .address_space:  global
        .offset:         88
        .size:           8
        .value_kind:     global_buffer
      - .address_space:  global
        .offset:         96
        .size:           8
        .value_kind:     global_buffer
    .group_segment_fixed_size: 7200
    .kernarg_segment_align: 8
    .kernarg_segment_size: 104
    .language:       OpenCL C
    .language_version:
      - 2
      - 0
    .max_flat_workgroup_size: 120
    .name:           bluestein_single_fwd_len450_dim1_half_op_CI_CI
    .private_segment_fixed_size: 0
    .sgpr_count:     24
    .sgpr_spill_count: 0
    .symbol:         bluestein_single_fwd_len450_dim1_half_op_CI_CI.kd
    .uniform_work_group_size: 1
    .uses_dynamic_stack: false
    .vgpr_count:     109
    .vgpr_spill_count: 0
    .wavefront_size: 64
amdhsa.target:   amdgcn-amd-amdhsa--gfx906
amdhsa.version:
  - 1
  - 2
...

	.end_amdgpu_metadata
